;; amdgpu-corpus repo=zjin-lcf/HeCBench kind=compiled arch=gfx950 opt=O3
	.amdgcn_target "amdgcn-amd-amdhsa--gfx950"
	.amdhsa_code_object_version 6
	.text
	.protected	_Z6InputsPiPN2rw3CutEi  ; -- Begin function _Z6InputsPiPN2rw3CutEi
	.globl	_Z6InputsPiPN2rw3CutEi
	.p2align	8
	.type	_Z6InputsPiPN2rw3CutEi,@function
_Z6InputsPiPN2rw3CutEi:                 ; @_Z6InputsPiPN2rw3CutEi
; %bb.0:
	s_load_dword s3, s[0:1], 0x24
	s_load_dword s4, s[0:1], 0x10
	s_waitcnt lgkmcnt(0)
	s_and_b32 s3, s3, 0xffff
	s_mul_i32 s2, s2, s3
	v_add3_u32 v1, v0, s2, 1
	v_cmp_ge_i32_e32 vcc, s4, v1
	s_and_saveexec_b64 s[2:3], vcc
	s_cbranch_execz .LBB0_2
; %bb.1:
	s_load_dwordx2 s[0:1], s[0:1], 0x8
	v_lshlrev_b32_e32 v0, 3, v1
	s_waitcnt lgkmcnt(0)
	v_mad_i64_i32 v[2:3], s[0:1], v0, 28, s[0:1]
	global_load_dword v4, v[2:3], off offset:20
	v_mov_b32_e32 v0, 1
	global_store_byte v[2:3], v0, off offset:24
	v_lshlrev_b32_e64 v0, v1, 1
	global_store_dwordx2 v[2:3], v[0:1], off
	s_waitcnt vmcnt(2)
	v_and_b32_e32 v0, 0x80000000, v4
	v_or_b32_e32 v0, 0xbe9aaaa, v0
	global_store_dword v[2:3], v0, off offset:20
.LBB0_2:
	s_endpgm
	.section	.rodata,"a",@progbits
	.p2align	6, 0x0
	.amdhsa_kernel _Z6InputsPiPN2rw3CutEi
		.amdhsa_group_segment_fixed_size 0
		.amdhsa_private_segment_fixed_size 0
		.amdhsa_kernarg_size 280
		.amdhsa_user_sgpr_count 2
		.amdhsa_user_sgpr_dispatch_ptr 0
		.amdhsa_user_sgpr_queue_ptr 0
		.amdhsa_user_sgpr_kernarg_segment_ptr 1
		.amdhsa_user_sgpr_dispatch_id 0
		.amdhsa_user_sgpr_kernarg_preload_length 0
		.amdhsa_user_sgpr_kernarg_preload_offset 0
		.amdhsa_user_sgpr_private_segment_size 0
		.amdhsa_uses_dynamic_stack 0
		.amdhsa_enable_private_segment 0
		.amdhsa_system_sgpr_workgroup_id_x 1
		.amdhsa_system_sgpr_workgroup_id_y 0
		.amdhsa_system_sgpr_workgroup_id_z 0
		.amdhsa_system_sgpr_workgroup_info 0
		.amdhsa_system_vgpr_workitem_id 0
		.amdhsa_next_free_vgpr 5
		.amdhsa_next_free_sgpr 5
		.amdhsa_accum_offset 8
		.amdhsa_reserve_vcc 1
		.amdhsa_float_round_mode_32 0
		.amdhsa_float_round_mode_16_64 0
		.amdhsa_float_denorm_mode_32 3
		.amdhsa_float_denorm_mode_16_64 3
		.amdhsa_dx10_clamp 1
		.amdhsa_ieee_mode 1
		.amdhsa_fp16_overflow 0
		.amdhsa_tg_split 0
		.amdhsa_exception_fp_ieee_invalid_op 0
		.amdhsa_exception_fp_denorm_src 0
		.amdhsa_exception_fp_ieee_div_zero 0
		.amdhsa_exception_fp_ieee_overflow 0
		.amdhsa_exception_fp_ieee_underflow 0
		.amdhsa_exception_fp_ieee_inexact 0
		.amdhsa_exception_int_div_zero 0
	.end_amdhsa_kernel
	.text
.Lfunc_end0:
	.size	_Z6InputsPiPN2rw3CutEi, .Lfunc_end0-_Z6InputsPiPN2rw3CutEi
                                        ; -- End function
	.set _Z6InputsPiPN2rw3CutEi.num_vgpr, 5
	.set _Z6InputsPiPN2rw3CutEi.num_agpr, 0
	.set _Z6InputsPiPN2rw3CutEi.numbered_sgpr, 5
	.set _Z6InputsPiPN2rw3CutEi.num_named_barrier, 0
	.set _Z6InputsPiPN2rw3CutEi.private_seg_size, 0
	.set _Z6InputsPiPN2rw3CutEi.uses_vcc, 1
	.set _Z6InputsPiPN2rw3CutEi.uses_flat_scratch, 0
	.set _Z6InputsPiPN2rw3CutEi.has_dyn_sized_stack, 0
	.set _Z6InputsPiPN2rw3CutEi.has_recursion, 0
	.set _Z6InputsPiPN2rw3CutEi.has_indirect_call, 0
	.section	.AMDGPU.csdata,"",@progbits
; Kernel info:
; codeLenInByte = 144
; TotalNumSgprs: 11
; NumVgprs: 5
; NumAgprs: 0
; TotalNumVgprs: 5
; ScratchSize: 0
; MemoryBound: 0
; FloatMode: 240
; IeeeMode: 1
; LDSByteSize: 0 bytes/workgroup (compile time only)
; SGPRBlocks: 1
; VGPRBlocks: 0
; NumSGPRsForWavesPerEU: 11
; NumVGPRsForWavesPerEU: 5
; AccumOffset: 8
; Occupancy: 8
; WaveLimiterHint : 0
; COMPUTE_PGM_RSRC2:SCRATCH_EN: 0
; COMPUTE_PGM_RSRC2:USER_SGPR: 2
; COMPUTE_PGM_RSRC2:TRAP_HANDLER: 0
; COMPUTE_PGM_RSRC2:TGID_X_EN: 1
; COMPUTE_PGM_RSRC2:TGID_Y_EN: 0
; COMPUTE_PGM_RSRC2:TGID_Z_EN: 0
; COMPUTE_PGM_RSRC2:TIDIG_COMP_CNT: 0
; COMPUTE_PGM_RSRC3_GFX90A:ACCUM_OFFSET: 1
; COMPUTE_PGM_RSRC3_GFX90A:TG_SPLIT: 0
	.text
	.protected	_Z12CutEnumeratePiS_S_S_S_PN2rw3CutEii ; -- Begin function _Z12CutEnumeratePiS_S_S_S_PN2rw3CutEii
	.globl	_Z12CutEnumeratePiS_S_S_S_PN2rw3CutEii
	.p2align	8
	.type	_Z12CutEnumeratePiS_S_S_S_PN2rw3CutEii,@function
_Z12CutEnumeratePiS_S_S_S_PN2rw3CutEii: ; @_Z12CutEnumeratePiS_S_S_S_PN2rw3CutEii
; %bb.0:
	s_load_dword s5, s[2:3], 0x44
	s_load_dwordx2 s[16:17], s[2:3], 0x30
	v_and_b32_e32 v1, 0x3ff, v0
	s_mov_b32 s33, 0xffff
	s_waitcnt lgkmcnt(0)
	s_and_b32 s5, s5, 0xffff
	s_mul_i32 s4, s4, s5
	v_add_u32_e32 v2, s4, v1
	v_cmp_gt_i32_e32 vcc, s17, v2
	s_and_saveexec_b64 s[4:5], vcc
	s_cbranch_execz .LBB1_504
; %bb.1:
	s_load_dwordx4 s[12:15], s[2:3], 0x20
	v_add3_u32 v5, s16, 1, v2
	v_lshlrev_b32_e32 v3, 3, v5
	v_mov_b32_e32 v30, 1
	s_ashr_i32 s17, s16, 31
	s_waitcnt lgkmcnt(0)
	v_mad_i64_i32 v[14:15], s[4:5], v3, 28, s[14:15]
	global_load_dword v10, v[14:15], off offset:20
	s_load_dwordx8 s[4:11], s[2:3], 0x0
	v_ashrrev_i32_e32 v3, 31, v2
	v_lshlrev_b32_e64 v4, v5, 1
	v_lshl_add_u64 v[2:3], s[16:17], 0, v[2:3]
	global_store_byte v[14:15], v30, off offset:24
	global_store_dwordx2 v[14:15], v[4:5], off
	v_lshlrev_b64 v[2:3], 2, v[2:3]
	s_waitcnt lgkmcnt(0)
	v_lshl_add_u64 v[6:7], s[4:5], 0, v[2:3]
	v_lshl_add_u64 v[8:9], s[6:7], 0, v[2:3]
	s_load_dwordx2 s[2:3], s[0:1], 0x4
	s_movk_i32 s60, 0x74
	s_movk_i32 s61, 0x74
	;; [unrolled: 1-line block ×4, first 2 shown]
	s_waitcnt lgkmcnt(0)
	s_lshr_b32 s0, s2, 16
	s_mul_i32 s0, s0, s3
	v_mul_lo_u32 v1, s0, v1
	s_mov_b32 s64, 32
	s_movk_i32 s65, 0x58
	s_mov_b32 s66, 0
	s_mov_b64 s[6:7], 0
	s_mov_b32 s67, 0x55555555
	s_brev_b32 s68, 8
	s_mov_b32 s69, 0x10000001
	v_mov_b32_e32 v31, 0
	s_mov_b32 s70, 0x87ffffff
	s_mov_b32 s71, 0x9999
	s_movk_i32 s72, 0x3030
	s_mov_b32 s73, 0xf800ffff
	v_lshl_add_u64 v[16:17], s[8:9], 0, v[2:3]
	v_lshl_add_u64 v[18:19], s[10:11], 0, v[2:3]
	;; [unrolled: 1-line block ×3, first 2 shown]
	v_mov_b32_e32 v38, 0x3e90000
	s_waitcnt vmcnt(2)
	v_and_b32_e32 v4, 0x80000000, v10
	v_or_b32_e32 v4, 0xbe9aaaa, v4
	global_store_dword v[14:15], v4, off offset:20
	global_load_dword v4, v[6:7], off offset:4
	s_nop 0
	global_load_dword v5, v[8:9], off offset:4
	v_bfe_u32 v6, v0, 10, 10
	v_bfe_u32 v0, v0, 20, 10
	v_mul_u32_u24_e32 v6, s3, v6
	v_add3_u32 v0, v1, v6, v0
	v_mul_lo_u32 v1, v0, 28
	v_lshl_add_u32 v32, v0, 1, v0
	v_add_u32_e32 v33, 0x7c00, v1
	v_add_u32_e32 v34, 0xc00, v1
	;; [unrolled: 1-line block ×3, first 2 shown]
	s_waitcnt vmcnt(1)
	v_lshlrev_b32_e32 v36, 3, v4
	s_waitcnt vmcnt(0)
	v_lshlrev_b32_e32 v37, 3, v5
	s_branch .LBB1_3
.LBB1_2:                                ;   in Loop: Header=BB1_3 Depth=1
	s_or_b64 exec, exec, s[4:5]
	s_and_b64 s[0:1], exec, s[2:3]
	s_or_b64 s[6:7], s[0:1], s[6:7]
	s_andn2_b64 exec, exec, s[6:7]
	s_cbranch_execz .LBB1_504
.LBB1_3:                                ; =>This Loop Header: Depth=1
                                        ;     Child Loop BB1_6 Depth 2
                                        ;       Child Loop BB1_185 Depth 3
                                        ;         Child Loop BB1_193 Depth 4
                                        ;           Child Loop BB1_194 Depth 5
                                        ;         Child Loop BB1_209 Depth 4
                                        ;           Child Loop BB1_210 Depth 5
                                        ;       Child Loop BB1_264 Depth 3
                                        ;         Child Loop BB1_266 Depth 4
                                        ;       Child Loop BB1_312 Depth 3
                                        ;       Child Loop BB1_360 Depth 3
	;; [unrolled: 1-line block ×3, first 2 shown]
                                        ;         Child Loop BB1_380 Depth 4
                                        ;       Child Loop BB1_388 Depth 3
                                        ;       Child Loop BB1_404 Depth 3
                                        ;       Child Loop BB1_417 Depth 3
                                        ;       Child Loop BB1_430 Depth 3
                                        ;       Child Loop BB1_440 Depth 3
                                        ;       Child Loop BB1_445 Depth 3
                                        ;         Child Loop BB1_453 Depth 4
                                        ;           Child Loop BB1_454 Depth 5
                                        ;         Child Loop BB1_469 Depth 4
                                        ;           Child Loop BB1_470 Depth 5
                                        ;       Child Loop BB1_489 Depth 3
	s_waitcnt vmcnt(0)
	v_add_u32_e32 v0, s66, v36
	v_mad_i64_i32 v[22:23], s[0:1], v0, 28, s[14:15]
	global_load_ubyte v0, v[22:23], off offset:24
	s_mov_b64 s[0:1], -1
	s_waitcnt vmcnt(0)
	v_and_b32_e32 v0, 1, v0
	v_cmp_eq_u32_e32 vcc, 1, v0
	s_and_saveexec_b64 s[8:9], vcc
	s_cbranch_execz .LBB1_502
; %bb.4:                                ;   in Loop: Header=BB1_3 Depth=1
	s_mov_b32 s74, 0
	s_mov_b64 s[10:11], 0
                                        ; implicit-def: $sgpr16_sgpr17
	s_branch .LBB1_6
.LBB1_5:                                ;   in Loop: Header=BB1_6 Depth=2
	s_or_b64 exec, exec, s[2:3]
	s_xor_b64 s[0:1], s[0:1], -1
	s_and_b64 s[2:3], exec, s[18:19]
	s_or_b64 s[10:11], s[2:3], s[10:11]
	s_andn2_b64 s[2:3], s[16:17], exec
	s_and_b64 s[0:1], s[0:1], exec
	s_or_b64 s[16:17], s[2:3], s[0:1]
	s_andn2_b64 exec, exec, s[10:11]
	s_cbranch_execz .LBB1_501
.LBB1_6:                                ;   Parent Loop BB1_3 Depth=1
                                        ; =>  This Loop Header: Depth=2
                                        ;       Child Loop BB1_185 Depth 3
                                        ;         Child Loop BB1_193 Depth 4
                                        ;           Child Loop BB1_194 Depth 5
                                        ;         Child Loop BB1_209 Depth 4
                                        ;           Child Loop BB1_210 Depth 5
                                        ;       Child Loop BB1_264 Depth 3
                                        ;         Child Loop BB1_266 Depth 4
                                        ;       Child Loop BB1_312 Depth 3
                                        ;       Child Loop BB1_360 Depth 3
	;; [unrolled: 1-line block ×3, first 2 shown]
                                        ;         Child Loop BB1_380 Depth 4
                                        ;       Child Loop BB1_388 Depth 3
                                        ;       Child Loop BB1_404 Depth 3
	;; [unrolled: 1-line block ×6, first 2 shown]
                                        ;         Child Loop BB1_453 Depth 4
                                        ;           Child Loop BB1_454 Depth 5
                                        ;         Child Loop BB1_469 Depth 4
                                        ;           Child Loop BB1_470 Depth 5
                                        ;       Child Loop BB1_489 Depth 3
	s_waitcnt vmcnt(0)
	v_add_u32_e32 v0, s74, v37
	v_mad_i64_i32 v[4:5], s[0:1], v0, 28, s[14:15]
	global_load_ubyte v0, v[4:5], off offset:24
	s_mov_b64 s[18:19], -1
	s_mov_b64 s[4:5], -1
	s_waitcnt vmcnt(0)
	v_and_b32_e32 v0, 1, v0
	v_cmp_eq_u32_e32 vcc, 1, v0
	s_and_saveexec_b64 s[20:21], vcc
	s_cbranch_execz .LBB1_499
; %bb.7:                                ;   in Loop: Header=BB1_6 Depth=2
	global_load_dwordx4 v[0:3], v[4:5], off
	global_load_ushort v6, v[4:5], off offset:25
	global_load_ubyte v7, v[4:5], off offset:27
	global_load_dwordx4 v[10:13], v[22:23], off
	global_load_dwordx2 v[28:29], v[22:23], off offset:16
	global_load_dwordx2 v[26:27], v[4:5], off offset:16
	s_waitcnt vmcnt(4)
	ds_write_b16 v32, v6
	s_waitcnt vmcnt(3)
	ds_write_b8 v32, v7 offset:2
	s_waitcnt vmcnt(2)
	v_or_b32_e32 v40, v0, v10
	v_lshrrev_b32_e32 v4, 1, v40
	v_bitop3_b32 v0, v0, s67, v10 bitop3:0xc8
	v_and_b32_e32 v4, 0x55555555, v4
	v_add_u32_e32 v0, v4, v0
	v_and_b32_e32 v4, 0x33333333, v0
	v_lshrrev_b32_e32 v0, 2, v0
	v_and_b32_e32 v0, 0x33333333, v0
	v_add_u32_e32 v0, v0, v4
	v_and_b32_e32 v4, 0x7070707, v0
	v_lshrrev_b32_e32 v0, 4, v0
	;; [unrolled: 4-line block ×3, first 2 shown]
	v_and_b32_e32 v0, 0xf000f, v0
	v_add_u32_e32 v0, v0, v4
	v_and_b32_e32 v4, 31, v0
	v_add_u32_sdwa v0, v4, v0 dst_sel:DWORD dst_unused:UNUSED_PAD src0_sel:DWORD src1_sel:WORD_1
	v_cmp_gt_u32_e32 vcc, 5, v0
	v_mov_b32_e32 v6, 7
	s_and_saveexec_b64 s[22:23], vcc
	s_cbranch_execz .LBB1_496
; %bb.8:                                ;   in Loop: Header=BB1_6 Depth=2
	global_load_ubyte v4, v[14:15], off offset:24
	global_load_ubyte v0, v[22:23], off offset:24
	v_mov_b32_e32 v39, 0
	s_waitcnt vmcnt(1)
	v_cmp_ne_u16_e32 vcc, 0, v4
	s_and_saveexec_b64 s[2:3], vcc
	s_cbranch_execz .LBB1_154
; %bb.9:                                ;   in Loop: Header=BB1_6 Depth=2
	global_load_ubyte v4, v[14:15], off offset:52
	v_mov_b32_e32 v39, 1
	s_waitcnt vmcnt(0)
	v_cmp_ne_u16_e32 vcc, 0, v4
	s_and_saveexec_b64 s[4:5], vcc
	s_cbranch_execz .LBB1_153
; %bb.10:                               ;   in Loop: Header=BB1_6 Depth=2
	global_load_ubyte v4, v[14:15], off offset:80
	v_mov_b32_e32 v39, 2
	s_waitcnt vmcnt(0)
	v_cmp_ne_u16_e32 vcc, 0, v4
	s_and_saveexec_b64 s[24:25], vcc
	s_cbranch_execz .LBB1_152
; %bb.11:                               ;   in Loop: Header=BB1_6 Depth=2
	;; [unrolled: 7-line block ×7, first 2 shown]
	global_load_dword v4, v[14:15], off offset:20
	global_load_dword v5, v[14:15], off offset:48
	s_waitcnt vmcnt(1)
	v_and_b32_e32 v41, 0x78000000, v4
	s_waitcnt vmcnt(0)
	v_and_b32_e32 v25, 0x78000000, v5
	v_cmp_gt_u32_e64 s[40:41], s69, v41
	v_cmp_lt_u32_e32 vcc, s68, v41
	v_cmp_lt_u32_e64 s[0:1], s68, v25
	v_cndmask_b32_e64 v39, 0, -1, s[40:41]
	s_and_saveexec_b64 s[38:39], s[0:1]
	s_cbranch_execz .LBB1_22
; %bb.17:                               ;   in Loop: Header=BB1_6 Depth=2
	s_and_saveexec_b64 s[0:1], vcc
; %bb.18:                               ;   in Loop: Header=BB1_6 Depth=2
	v_bfe_u32 v6, v5, 16, 11
	v_bfe_u32 v7, v4, 16, 11
	v_cmp_lt_u32_e32 vcc, v6, v7
	s_andn2_b64 s[40:41], s[40:41], exec
	s_and_b64 s[42:43], vcc, exec
	s_or_b64 s[40:41], s[40:41], s[42:43]
; %bb.19:                               ;   in Loop: Header=BB1_6 Depth=2
	s_or_b64 exec, exec, s[0:1]
	v_mov_b32_e32 v39, 0
	s_and_saveexec_b64 s[0:1], s[40:41]
; %bb.20:                               ;   in Loop: Header=BB1_6 Depth=2
	v_mov_b32_e32 v39, 1
; %bb.21:                               ;   in Loop: Header=BB1_6 Depth=2
	s_or_b64 exec, exec, s[0:1]
.LBB1_22:                               ;   in Loop: Header=BB1_6 Depth=2
	s_or_b64 exec, exec, s[38:39]
	global_load_dword v6, v[14:15], off offset:76
	s_waitcnt vmcnt(0)
	v_and_b32_e32 v42, 0x78000000, v6
	v_cmp_lt_u32_e32 vcc, s68, v42
	s_and_saveexec_b64 s[0:1], vcc
	s_cbranch_execz .LBB1_28
; %bb.23:                               ;   in Loop: Header=BB1_6 Depth=2
	v_cmp_eq_u32_e64 s[38:39], -1, v39
	v_cmp_ne_u32_e32 vcc, -1, v39
	s_and_saveexec_b64 s[40:41], vcc
	s_cbranch_execz .LBB1_25
; %bb.24:                               ;   in Loop: Header=BB1_6 Depth=2
	v_mad_i64_i32 v[8:9], s[42:43], v39, 28, v[14:15]
	global_load_dword v7, v[8:9], off offset:20
	v_bfe_u32 v8, v6, 16, 11
	s_andn2_b64 s[38:39], s[38:39], exec
	s_waitcnt vmcnt(0)
	v_bfe_u32 v7, v7, 16, 11
	v_cmp_lt_u32_e32 vcc, v8, v7
	s_and_b64 s[42:43], vcc, exec
	s_or_b64 s[38:39], s[38:39], s[42:43]
.LBB1_25:                               ;   in Loop: Header=BB1_6 Depth=2
	s_or_b64 exec, exec, s[40:41]
	s_and_saveexec_b64 s[40:41], s[38:39]
; %bb.26:                               ;   in Loop: Header=BB1_6 Depth=2
	v_mov_b32_e32 v39, 2
; %bb.27:                               ;   in Loop: Header=BB1_6 Depth=2
	s_or_b64 exec, exec, s[40:41]
.LBB1_28:                               ;   in Loop: Header=BB1_6 Depth=2
	s_or_b64 exec, exec, s[0:1]
	global_load_dword v7, v[14:15], off offset:104
	s_waitcnt vmcnt(0)
	v_and_b32_e32 v43, 0x78000000, v7
	v_cmp_lt_u32_e32 vcc, s68, v43
	s_and_saveexec_b64 s[0:1], vcc
	s_cbranch_execz .LBB1_34
; %bb.29:                               ;   in Loop: Header=BB1_6 Depth=2
	v_cmp_eq_u32_e64 s[38:39], -1, v39
	v_cmp_ne_u32_e32 vcc, -1, v39
	s_and_saveexec_b64 s[40:41], vcc
	s_cbranch_execz .LBB1_31
; %bb.30:                               ;   in Loop: Header=BB1_6 Depth=2
	v_mad_i64_i32 v[8:9], s[42:43], v39, 28, v[14:15]
	global_load_dword v8, v[8:9], off offset:20
	v_bfe_u32 v9, v7, 16, 11
	s_andn2_b64 s[38:39], s[38:39], exec
	s_waitcnt vmcnt(0)
	v_bfe_u32 v8, v8, 16, 11
	v_cmp_lt_u32_e32 vcc, v9, v8
	s_and_b64 s[42:43], vcc, exec
	s_or_b64 s[38:39], s[38:39], s[42:43]
.LBB1_31:                               ;   in Loop: Header=BB1_6 Depth=2
	s_or_b64 exec, exec, s[40:41]
	s_and_saveexec_b64 s[40:41], s[38:39]
; %bb.32:                               ;   in Loop: Header=BB1_6 Depth=2
	v_mov_b32_e32 v39, 3
; %bb.33:                               ;   in Loop: Header=BB1_6 Depth=2
	s_or_b64 exec, exec, s[40:41]
.LBB1_34:                               ;   in Loop: Header=BB1_6 Depth=2
	;; [unrolled: 30-line block ×5, first 2 shown]
	s_or_b64 exec, exec, s[0:1]
	global_load_dword v24, v[14:15], off offset:216
	s_waitcnt vmcnt(0)
	v_and_b32_e32 v47, 0x78000000, v24
	v_cmp_lt_u32_e32 vcc, s68, v47
	s_and_saveexec_b64 s[0:1], vcc
	s_cbranch_execz .LBB1_59
; %bb.53:                               ;   in Loop: Header=BB1_6 Depth=2
	v_cmp_eq_u32_e64 s[38:39], -1, v39
	v_cmp_ne_u32_e32 vcc, -1, v39
	s_and_saveexec_b64 s[40:41], vcc
	s_cbranch_execz .LBB1_55
; %bb.54:                               ;   in Loop: Header=BB1_6 Depth=2
	v_mad_i64_i32 v[48:49], s[42:43], v39, 28, v[14:15]
	global_load_dword v48, v[48:49], off offset:20
	v_bfe_u32 v49, v24, 16, 11
	s_andn2_b64 s[38:39], s[38:39], exec
	s_waitcnt vmcnt(0)
	v_bfe_u32 v48, v48, 16, 11
	v_cmp_lt_u32_e32 vcc, v49, v48
	s_and_b64 s[42:43], vcc, exec
	s_or_b64 s[38:39], s[38:39], s[42:43]
.LBB1_55:                               ;   in Loop: Header=BB1_6 Depth=2
	s_or_b64 exec, exec, s[40:41]
	s_and_saveexec_b64 s[40:41], s[38:39]
; %bb.56:                               ;   in Loop: Header=BB1_6 Depth=2
	v_mov_b32_e32 v39, 7
; %bb.57:                               ;   in Loop: Header=BB1_6 Depth=2
	s_or_b64 exec, exec, s[40:41]
	s_or_b64 exec, exec, s[0:1]
	v_cmp_eq_u32_e32 vcc, -1, v39
	s_and_saveexec_b64 s[38:39], vcc
	s_cbranch_execnz .LBB1_60
.LBB1_58:                               ;   in Loop: Header=BB1_6 Depth=2
	s_or_b64 exec, exec, s[38:39]
	v_cmp_eq_u32_e32 vcc, -1, v39
	s_and_saveexec_b64 s[38:39], vcc
	s_cbranch_execnz .LBB1_103
	s_branch .LBB1_146
.LBB1_59:                               ;   in Loop: Header=BB1_6 Depth=2
	s_or_b64 exec, exec, s[0:1]
	v_cmp_eq_u32_e32 vcc, -1, v39
	s_and_saveexec_b64 s[38:39], vcc
	s_cbranch_execz .LBB1_58
.LBB1_60:                               ;   in Loop: Header=BB1_6 Depth=2
	v_cmp_ne_u32_e64 s[42:43], s68, v41
	v_cmp_eq_u32_e32 vcc, s68, v41
	v_cmp_eq_u32_e64 s[0:1], s68, v25
	v_cndmask_b32_e64 v39, 0, -1, s[42:43]
	s_and_saveexec_b64 s[40:41], s[0:1]
	s_cbranch_execz .LBB1_79
; %bb.61:                               ;   in Loop: Header=BB1_6 Depth=2
	s_and_saveexec_b64 s[0:1], vcc
; %bb.62:                               ;   in Loop: Header=BB1_6 Depth=2
	v_bfe_u32 v25, v5, 16, 11
	v_bfe_u32 v39, v4, 16, 11
	v_cmp_lt_u32_e32 vcc, v25, v39
	s_andn2_b64 s[42:43], s[42:43], exec
	s_and_b64 s[44:45], vcc, exec
	s_or_b64 s[42:43], s[42:43], s[44:45]
; %bb.63:                               ;   in Loop: Header=BB1_6 Depth=2
	s_or_b64 exec, exec, s[0:1]
	v_mov_b32_e32 v39, 0
	s_and_saveexec_b64 s[0:1], s[42:43]
; %bb.64:                               ;   in Loop: Header=BB1_6 Depth=2
	v_mov_b32_e32 v39, 1
; %bb.65:                               ;   in Loop: Header=BB1_6 Depth=2
	s_or_b64 exec, exec, s[0:1]
	s_or_b64 exec, exec, s[40:41]
	v_cmp_eq_u32_e32 vcc, s68, v42
	s_and_saveexec_b64 s[0:1], vcc
	s_cbranch_execnz .LBB1_80
.LBB1_66:                               ;   in Loop: Header=BB1_6 Depth=2
	s_or_b64 exec, exec, s[0:1]
	v_cmp_eq_u32_e32 vcc, s68, v43
	s_and_saveexec_b64 s[0:1], vcc
	s_cbranch_execz .LBB1_85
.LBB1_67:                               ;   in Loop: Header=BB1_6 Depth=2
	v_cmp_eq_u32_e64 s[40:41], -1, v39
	v_cmp_ne_u32_e32 vcc, -1, v39
	s_and_saveexec_b64 s[42:43], vcc
	s_cbranch_execz .LBB1_69
; %bb.68:                               ;   in Loop: Header=BB1_6 Depth=2
	v_mad_i64_i32 v[42:43], s[44:45], v39, 28, v[14:15]
	global_load_dword v25, v[42:43], off offset:20
	v_bfe_u32 v41, v7, 16, 11
	s_andn2_b64 s[40:41], s[40:41], exec
	s_waitcnt vmcnt(0)
	v_bfe_u32 v25, v25, 16, 11
	v_cmp_lt_u32_e32 vcc, v41, v25
	s_and_b64 s[44:45], vcc, exec
	s_or_b64 s[40:41], s[40:41], s[44:45]
.LBB1_69:                               ;   in Loop: Header=BB1_6 Depth=2
	s_or_b64 exec, exec, s[42:43]
	s_and_saveexec_b64 s[42:43], s[40:41]
; %bb.70:                               ;   in Loop: Header=BB1_6 Depth=2
	v_mov_b32_e32 v39, 3
; %bb.71:                               ;   in Loop: Header=BB1_6 Depth=2
	s_or_b64 exec, exec, s[42:43]
	s_or_b64 exec, exec, s[0:1]
	v_cmp_eq_u32_e32 vcc, s68, v44
	s_and_saveexec_b64 s[0:1], vcc
	s_cbranch_execnz .LBB1_86
.LBB1_72:                               ;   in Loop: Header=BB1_6 Depth=2
	s_or_b64 exec, exec, s[0:1]
	v_cmp_eq_u32_e32 vcc, s68, v45
	s_and_saveexec_b64 s[0:1], vcc
	s_cbranch_execz .LBB1_91
.LBB1_73:                               ;   in Loop: Header=BB1_6 Depth=2
	v_cmp_eq_u32_e64 s[40:41], -1, v39
	v_cmp_ne_u32_e32 vcc, -1, v39
	s_and_saveexec_b64 s[42:43], vcc
	s_cbranch_execz .LBB1_75
; %bb.74:                               ;   in Loop: Header=BB1_6 Depth=2
	v_mad_i64_i32 v[42:43], s[44:45], v39, 28, v[14:15]
	global_load_dword v25, v[42:43], off offset:20
	v_bfe_u32 v41, v9, 16, 11
	s_andn2_b64 s[40:41], s[40:41], exec
	s_waitcnt vmcnt(0)
	v_bfe_u32 v25, v25, 16, 11
	v_cmp_lt_u32_e32 vcc, v41, v25
	s_and_b64 s[44:45], vcc, exec
	s_or_b64 s[40:41], s[40:41], s[44:45]
.LBB1_75:                               ;   in Loop: Header=BB1_6 Depth=2
	s_or_b64 exec, exec, s[42:43]
	s_and_saveexec_b64 s[42:43], s[40:41]
; %bb.76:                               ;   in Loop: Header=BB1_6 Depth=2
	v_mov_b32_e32 v39, 5
; %bb.77:                               ;   in Loop: Header=BB1_6 Depth=2
	s_or_b64 exec, exec, s[42:43]
	s_or_b64 exec, exec, s[0:1]
	v_cmp_eq_u32_e32 vcc, s68, v46
	s_and_saveexec_b64 s[0:1], vcc
	s_cbranch_execnz .LBB1_92
.LBB1_78:                               ;   in Loop: Header=BB1_6 Depth=2
	s_or_b64 exec, exec, s[0:1]
	v_cmp_eq_u32_e32 vcc, s68, v47
	s_and_saveexec_b64 s[0:1], vcc
	s_cbranch_execnz .LBB1_97
	s_branch .LBB1_102
.LBB1_79:                               ;   in Loop: Header=BB1_6 Depth=2
	s_or_b64 exec, exec, s[40:41]
	v_cmp_eq_u32_e32 vcc, s68, v42
	s_and_saveexec_b64 s[0:1], vcc
	s_cbranch_execz .LBB1_66
.LBB1_80:                               ;   in Loop: Header=BB1_6 Depth=2
	v_cmp_eq_u32_e64 s[40:41], -1, v39
	v_cmp_ne_u32_e32 vcc, -1, v39
	s_and_saveexec_b64 s[42:43], vcc
	s_cbranch_execz .LBB1_82
; %bb.81:                               ;   in Loop: Header=BB1_6 Depth=2
	v_mad_i64_i32 v[48:49], s[44:45], v39, 28, v[14:15]
	global_load_dword v25, v[48:49], off offset:20
	v_bfe_u32 v41, v6, 16, 11
	s_andn2_b64 s[40:41], s[40:41], exec
	s_waitcnt vmcnt(0)
	v_bfe_u32 v25, v25, 16, 11
	v_cmp_lt_u32_e32 vcc, v41, v25
	s_and_b64 s[44:45], vcc, exec
	s_or_b64 s[40:41], s[40:41], s[44:45]
.LBB1_82:                               ;   in Loop: Header=BB1_6 Depth=2
	s_or_b64 exec, exec, s[42:43]
	s_and_saveexec_b64 s[42:43], s[40:41]
; %bb.83:                               ;   in Loop: Header=BB1_6 Depth=2
	v_mov_b32_e32 v39, 2
; %bb.84:                               ;   in Loop: Header=BB1_6 Depth=2
	s_or_b64 exec, exec, s[42:43]
	s_or_b64 exec, exec, s[0:1]
	v_cmp_eq_u32_e32 vcc, s68, v43
	s_and_saveexec_b64 s[0:1], vcc
	s_cbranch_execnz .LBB1_67
.LBB1_85:                               ;   in Loop: Header=BB1_6 Depth=2
	s_or_b64 exec, exec, s[0:1]
	v_cmp_eq_u32_e32 vcc, s68, v44
	s_and_saveexec_b64 s[0:1], vcc
	s_cbranch_execz .LBB1_72
.LBB1_86:                               ;   in Loop: Header=BB1_6 Depth=2
	v_cmp_eq_u32_e64 s[40:41], -1, v39
	v_cmp_ne_u32_e32 vcc, -1, v39
	s_and_saveexec_b64 s[42:43], vcc
	s_cbranch_execz .LBB1_88
; %bb.87:                               ;   in Loop: Header=BB1_6 Depth=2
	v_mad_i64_i32 v[42:43], s[44:45], v39, 28, v[14:15]
	global_load_dword v25, v[42:43], off offset:20
	v_bfe_u32 v41, v8, 16, 11
	s_andn2_b64 s[40:41], s[40:41], exec
	s_waitcnt vmcnt(0)
	v_bfe_u32 v25, v25, 16, 11
	v_cmp_lt_u32_e32 vcc, v41, v25
	s_and_b64 s[44:45], vcc, exec
	s_or_b64 s[40:41], s[40:41], s[44:45]
.LBB1_88:                               ;   in Loop: Header=BB1_6 Depth=2
	s_or_b64 exec, exec, s[42:43]
	s_and_saveexec_b64 s[42:43], s[40:41]
; %bb.89:                               ;   in Loop: Header=BB1_6 Depth=2
	v_mov_b32_e32 v39, 4
; %bb.90:                               ;   in Loop: Header=BB1_6 Depth=2
	s_or_b64 exec, exec, s[42:43]
	s_or_b64 exec, exec, s[0:1]
	v_cmp_eq_u32_e32 vcc, s68, v45
	s_and_saveexec_b64 s[0:1], vcc
	s_cbranch_execnz .LBB1_73
.LBB1_91:                               ;   in Loop: Header=BB1_6 Depth=2
	s_or_b64 exec, exec, s[0:1]
	v_cmp_eq_u32_e32 vcc, s68, v46
	s_and_saveexec_b64 s[0:1], vcc
	s_cbranch_execz .LBB1_78
.LBB1_92:                               ;   in Loop: Header=BB1_6 Depth=2
	v_cmp_eq_u32_e64 s[40:41], -1, v39
	v_cmp_ne_u32_e32 vcc, -1, v39
	s_and_saveexec_b64 s[42:43], vcc
	s_cbranch_execz .LBB1_94
; %bb.93:                               ;   in Loop: Header=BB1_6 Depth=2
	v_mad_i64_i32 v[42:43], s[44:45], v39, 28, v[14:15]
	global_load_dword v25, v[42:43], off offset:20
	v_bfe_u32 v41, v10, 16, 11
	s_andn2_b64 s[40:41], s[40:41], exec
	s_waitcnt vmcnt(0)
	v_bfe_u32 v25, v25, 16, 11
	v_cmp_lt_u32_e32 vcc, v41, v25
	s_and_b64 s[44:45], vcc, exec
	s_or_b64 s[40:41], s[40:41], s[44:45]
.LBB1_94:                               ;   in Loop: Header=BB1_6 Depth=2
	s_or_b64 exec, exec, s[42:43]
	s_and_saveexec_b64 s[42:43], s[40:41]
; %bb.95:                               ;   in Loop: Header=BB1_6 Depth=2
	v_mov_b32_e32 v39, 6
; %bb.96:                               ;   in Loop: Header=BB1_6 Depth=2
	s_or_b64 exec, exec, s[42:43]
	s_or_b64 exec, exec, s[0:1]
	v_cmp_eq_u32_e32 vcc, s68, v47
	s_and_saveexec_b64 s[0:1], vcc
	s_cbranch_execz .LBB1_102
.LBB1_97:                               ;   in Loop: Header=BB1_6 Depth=2
	v_cmp_eq_u32_e64 s[40:41], -1, v39
	v_cmp_ne_u32_e32 vcc, -1, v39
	s_and_saveexec_b64 s[42:43], vcc
	s_cbranch_execz .LBB1_99
; %bb.98:                               ;   in Loop: Header=BB1_6 Depth=2
	v_mad_i64_i32 v[42:43], s[44:45], v39, 28, v[14:15]
	global_load_dword v25, v[42:43], off offset:20
	v_bfe_u32 v41, v24, 16, 11
	s_andn2_b64 s[40:41], s[40:41], exec
	s_waitcnt vmcnt(0)
	v_bfe_u32 v25, v25, 16, 11
	v_cmp_lt_u32_e32 vcc, v41, v25
	s_and_b64 s[44:45], vcc, exec
	s_or_b64 s[40:41], s[40:41], s[44:45]
.LBB1_99:                               ;   in Loop: Header=BB1_6 Depth=2
	s_or_b64 exec, exec, s[42:43]
	s_and_saveexec_b64 s[42:43], s[40:41]
; %bb.100:                              ;   in Loop: Header=BB1_6 Depth=2
	v_mov_b32_e32 v39, 7
; %bb.101:                              ;   in Loop: Header=BB1_6 Depth=2
	s_or_b64 exec, exec, s[42:43]
.LBB1_102:                              ;   in Loop: Header=BB1_6 Depth=2
	s_or_b64 exec, exec, s[0:1]
	s_or_b64 exec, exec, s[38:39]
	v_cmp_eq_u32_e32 vcc, -1, v39
	s_and_saveexec_b64 s[38:39], vcc
	s_cbranch_execz .LBB1_146
.LBB1_103:                              ;   in Loop: Header=BB1_6 Depth=2
	v_and_b32_e32 v25, 0x70000000, v4
	v_cmp_eq_u32_e32 vcc, 0, v25
	v_cmp_ne_u32_e64 s[42:43], 0, v25
	v_and_b32_e32 v25, 0x70000000, v5
	v_cmp_eq_u32_e64 s[0:1], 0, v25
	v_cndmask_b32_e64 v39, 0, -1, s[42:43]
	s_and_saveexec_b64 s[40:41], s[0:1]
	s_cbranch_execz .LBB1_109
; %bb.104:                              ;   in Loop: Header=BB1_6 Depth=2
	s_and_saveexec_b64 s[0:1], vcc
; %bb.105:                              ;   in Loop: Header=BB1_6 Depth=2
	v_bfe_u32 v5, v5, 16, 11
	v_bfe_u32 v4, v4, 16, 11
	v_cmp_lt_u32_e32 vcc, v5, v4
	s_andn2_b64 s[42:43], s[42:43], exec
	s_and_b64 s[44:45], vcc, exec
	s_or_b64 s[42:43], s[42:43], s[44:45]
; %bb.106:                              ;   in Loop: Header=BB1_6 Depth=2
	s_or_b64 exec, exec, s[0:1]
	v_mov_b32_e32 v39, 0
	s_and_saveexec_b64 s[0:1], s[42:43]
; %bb.107:                              ;   in Loop: Header=BB1_6 Depth=2
	v_mov_b32_e32 v39, 1
; %bb.108:                              ;   in Loop: Header=BB1_6 Depth=2
	s_or_b64 exec, exec, s[0:1]
.LBB1_109:                              ;   in Loop: Header=BB1_6 Depth=2
	s_or_b64 exec, exec, s[40:41]
	v_and_b32_e32 v4, 0x70000000, v6
	v_cmp_eq_u32_e32 vcc, 0, v4
	s_and_saveexec_b64 s[0:1], vcc
	s_cbranch_execz .LBB1_115
; %bb.110:                              ;   in Loop: Header=BB1_6 Depth=2
	v_cmp_eq_u32_e64 s[40:41], -1, v39
	v_cmp_ne_u32_e32 vcc, -1, v39
	s_and_saveexec_b64 s[42:43], vcc
	s_cbranch_execz .LBB1_112
; %bb.111:                              ;   in Loop: Header=BB1_6 Depth=2
	v_mad_i64_i32 v[4:5], s[44:45], v39, 28, v[14:15]
	global_load_dword v4, v[4:5], off offset:20
	v_bfe_u32 v5, v6, 16, 11
	s_andn2_b64 s[40:41], s[40:41], exec
	s_waitcnt vmcnt(0)
	v_bfe_u32 v4, v4, 16, 11
	v_cmp_lt_u32_e32 vcc, v5, v4
	s_and_b64 s[44:45], vcc, exec
	s_or_b64 s[40:41], s[40:41], s[44:45]
.LBB1_112:                              ;   in Loop: Header=BB1_6 Depth=2
	s_or_b64 exec, exec, s[42:43]
	s_and_saveexec_b64 s[42:43], s[40:41]
; %bb.113:                              ;   in Loop: Header=BB1_6 Depth=2
	v_mov_b32_e32 v39, 2
; %bb.114:                              ;   in Loop: Header=BB1_6 Depth=2
	s_or_b64 exec, exec, s[42:43]
.LBB1_115:                              ;   in Loop: Header=BB1_6 Depth=2
	s_or_b64 exec, exec, s[0:1]
	v_and_b32_e32 v4, 0x70000000, v7
	v_cmp_eq_u32_e32 vcc, 0, v4
	s_and_saveexec_b64 s[0:1], vcc
	s_cbranch_execz .LBB1_121
; %bb.116:                              ;   in Loop: Header=BB1_6 Depth=2
	v_cmp_eq_u32_e64 s[40:41], -1, v39
	v_cmp_ne_u32_e32 vcc, -1, v39
	s_and_saveexec_b64 s[42:43], vcc
	s_cbranch_execz .LBB1_118
; %bb.117:                              ;   in Loop: Header=BB1_6 Depth=2
	v_mad_i64_i32 v[4:5], s[44:45], v39, 28, v[14:15]
	global_load_dword v4, v[4:5], off offset:20
	v_bfe_u32 v5, v7, 16, 11
	s_andn2_b64 s[40:41], s[40:41], exec
	s_waitcnt vmcnt(0)
	v_bfe_u32 v4, v4, 16, 11
	v_cmp_lt_u32_e32 vcc, v5, v4
	s_and_b64 s[44:45], vcc, exec
	s_or_b64 s[40:41], s[40:41], s[44:45]
.LBB1_118:                              ;   in Loop: Header=BB1_6 Depth=2
	s_or_b64 exec, exec, s[42:43]
	s_and_saveexec_b64 s[42:43], s[40:41]
; %bb.119:                              ;   in Loop: Header=BB1_6 Depth=2
	v_mov_b32_e32 v39, 3
; %bb.120:                              ;   in Loop: Header=BB1_6 Depth=2
	s_or_b64 exec, exec, s[42:43]
.LBB1_121:                              ;   in Loop: Header=BB1_6 Depth=2
	;; [unrolled: 28-line block ×6, first 2 shown]
	s_or_b64 exec, exec, s[0:1]
.LBB1_146:                              ;   in Loop: Header=BB1_6 Depth=2
	s_or_b64 exec, exec, s[38:39]
	v_mad_i64_i32 v[4:5], s[0:1], v39, 28, v[14:15]
	global_store_byte v[4:5], v31, off offset:24
.LBB1_147:                              ;   in Loop: Header=BB1_6 Depth=2
	s_or_b64 exec, exec, s[36:37]
.LBB1_148:                              ;   in Loop: Header=BB1_6 Depth=2
	s_or_b64 exec, exec, s[34:35]
.LBB1_149:                              ;   in Loop: Header=BB1_6 Depth=2
	s_or_b64 exec, exec, s[30:31]
.LBB1_150:                              ;   in Loop: Header=BB1_6 Depth=2
	s_or_b64 exec, exec, s[28:29]
.LBB1_151:                              ;   in Loop: Header=BB1_6 Depth=2
	s_or_b64 exec, exec, s[26:27]
.LBB1_152:                              ;   in Loop: Header=BB1_6 Depth=2
	s_or_b64 exec, exec, s[24:25]
.LBB1_153:                              ;   in Loop: Header=BB1_6 Depth=2
	s_or_b64 exec, exec, s[4:5]
.LBB1_154:                              ;   in Loop: Header=BB1_6 Depth=2
	s_or_b64 exec, exec, s[2:3]
	v_bfe_u32 v42, v29, 27, 4
	v_bfe_u32 v41, v27, 27, 4
	v_mov_b32_e32 v4, v11
	v_mov_b32_e32 v5, v12
	;; [unrolled: 1-line block ×4, first 2 shown]
	v_mad_i64_i32 v[24:25], s[0:1], v39, 28, v[14:15]
	v_cmp_ge_u32_e32 vcc, v42, v41
	s_mov_b64 s[24:25], 0
                                        ; implicit-def: $vgpr43
	s_and_saveexec_b64 s[0:1], vcc
	s_xor_b64 s[2:3], exec, s[0:1]
	s_cbranch_execz .LBB1_164
; %bb.155:                              ;   in Loop: Header=BB1_6 Depth=2
	ds_read_u16 v10, v32
	ds_read_u8 v12, v32 offset:2
	v_pk_mov_b32 v[6:7], v[4:5], v[8:9] op_sel:[1,0]
	v_cmp_ne_u32_e32 vcc, 0, v41
	s_mov_b64 s[4:5], 0
	s_mov_b64 s[0:1], 0
	ds_write_b32 v33, v11 offset:4
	s_waitcnt lgkmcnt(2)
	ds_write_b16 v35, v10
	s_waitcnt lgkmcnt(2)
	ds_write_b8 v35, v12 offset:2
	ds_write2_b32 v33, v6, v7 offset0:2 offset1:3
	ds_write2_b32 v33, v28, v29 offset0:4 offset1:5
	s_waitcnt vmcnt(0)
	ds_write_b8 v33, v0 offset:24
	ds_write2_b32 v34, v1, v2 offset0:1 offset1:2
	ds_write2_b32 v34, v3, v26 offset0:3 offset1:4
	ds_write_b32 v34, v27 offset:20
	ds_write_b8 v34, v30 offset:24
                                        ; implicit-def: $vgpr6
                                        ; implicit-def: $vgpr7
	s_and_saveexec_b64 s[24:25], vcc
	s_xor_b64 s[24:25], exec, s[24:25]
	s_cbranch_execz .LBB1_224
; %bb.156:                              ;   in Loop: Header=BB1_6 Depth=2
	v_cmp_ge_i32_e32 vcc, v11, v1
	v_mov_b32_e32 v7, 1
	v_mov_b32_e32 v6, 0
	s_and_saveexec_b64 s[0:1], vcc
; %bb.157:                              ;   in Loop: Header=BB1_6 Depth=2
	v_cmp_le_i32_e32 vcc, v11, v1
	v_mov_b32_e32 v6, 1
	v_mov_b32_e32 v11, v1
	v_cndmask_b32_e64 v7, 0, 1, vcc
; %bb.158:                              ;   in Loop: Header=BB1_6 Depth=2
	s_or_b64 exec, exec, s[0:1]
	s_mov_b64 s[0:1], exec
	s_andn2_saveexec_b64 s[24:25], s[24:25]
	s_cbranch_execnz .LBB1_225
.LBB1_159:                              ;   in Loop: Header=BB1_6 Depth=2
	s_or_b64 exec, exec, s[24:25]
	v_mov_b32_e32 v12, 0
	s_and_saveexec_b64 s[24:25], s[0:1]
	s_cbranch_execnz .LBB1_226
.LBB1_160:                              ;   in Loop: Header=BB1_6 Depth=2
	s_or_b64 exec, exec, s[24:25]
	s_mov_b64 s[0:1], 0
                                        ; implicit-def: $vgpr43
	s_and_saveexec_b64 s[24:25], s[4:5]
	s_cbranch_execz .LBB1_162
.LBB1_161:                              ;   in Loop: Header=BB1_6 Depth=2
	global_load_dword v6, v[24:25], off offset:20
	s_mov_b64 s[0:1], exec
	s_waitcnt vmcnt(0)
	v_and_or_b32 v43, v6, s70, v12
	global_store_dword v[24:25], v43, off offset:20
.LBB1_162:                              ;   in Loop: Header=BB1_6 Depth=2
	s_or_b64 exec, exec, s[24:25]
	s_and_b64 s[24:25], s[0:1], exec
                                        ; implicit-def: $vgpr11
	s_andn2_saveexec_b64 s[26:27], s[2:3]
	s_cbranch_execnz .LBB1_165
.LBB1_163:                              ;   in Loop: Header=BB1_6 Depth=2
	s_or_b64 exec, exec, s[26:27]
	v_mov_b32_e32 v6, 7
	s_and_saveexec_b64 s[4:5], s[24:25]
	s_cbranch_execnz .LBB1_183
	s_branch .LBB1_495
.LBB1_164:                              ;   in Loop: Header=BB1_6 Depth=2
	s_andn2_saveexec_b64 s[26:27], s[2:3]
	s_cbranch_execz .LBB1_163
.LBB1_165:                              ;   in Loop: Header=BB1_6 Depth=2
	v_cmp_eq_u32_e32 vcc, 0, v42
	v_cmp_lt_i32_e64 s[0:1], v1, v11
	v_cmp_le_i32_e64 s[4:5], v1, v11
	s_or_b64 s[2:3], vcc, s[0:1]
	v_mov_b32_e32 v44, v1
	v_mov_b32_e32 v45, v2
	;; [unrolled: 1-line block ×6, first 2 shown]
	s_or_b64 vcc, s[2:3], s[4:5]
	s_xor_b64 s[0:1], s[2:3], -1
	scratch_store_dwordx4 off, v[44:47], off offset:284
	scratch_store_dword off, v27, off offset:300
	scratch_store_byte off, v30, off offset:304
	scratch_store_dwordx4 off, v[6:9], off offset:312
	scratch_store_dword off, v29, off offset:328
	s_waitcnt vmcnt(5)
	scratch_store_byte off, v0, off offset:332
	v_cndmask_b32_e64 v7, 0, 1, vcc
	v_cndmask_b32_e64 v6, 0, 1, s[0:1]
	v_cndmask_b32_e64 v10, v11, v1, s[2:3]
	v_cmp_ne_u32_e64 s[4:5], v42, v6
	v_cmp_ne_u32_e64 s[0:1], v41, v7
	s_mov_b64 s[28:29], 0
	s_mov_b64 s[34:35], 0
	global_store_dword v[24:25], v10, off offset:4
	s_and_saveexec_b64 s[30:31], s[4:5]
	s_xor_b64 s[30:31], exec, s[30:31]
	s_cbranch_execz .LBB1_241
; %bb.166:                              ;   in Loop: Header=BB1_6 Depth=2
	v_cndmask_b32_e64 v10, v5, v11, s[2:3]
	s_and_saveexec_b64 s[4:5], s[0:1]
	s_xor_b64 s[34:35], exec, s[4:5]
	s_cbranch_execz .LBB1_176
; %bb.167:                              ;   in Loop: Header=BB1_6 Depth=2
	v_cndmask_b32_e32 v11, v1, v2, vcc
	v_cmp_ge_i32_e64 s[4:5], v11, v10
	s_and_saveexec_b64 s[36:37], s[4:5]
	s_xor_b64 s[36:37], exec, s[36:37]
	s_cbranch_execz .LBB1_173
; %bb.168:                              ;   in Loop: Header=BB1_6 Depth=2
	v_cmp_le_i32_e64 s[4:5], v11, v10
                                        ; implicit-def: $vgpr6
	s_and_saveexec_b64 s[38:39], s[4:5]
	s_xor_b64 s[4:5], exec, s[38:39]
	s_cbranch_execz .LBB1_170
; %bb.169:                              ;   in Loop: Header=BB1_6 Depth=2
	v_cndmask_b32_e64 v7, 1, 2, vcc
	v_cndmask_b32_e64 v6, 2, 1, s[2:3]
	global_store_dword v[24:25], v11, off offset:8
                                        ; implicit-def: $vgpr10
.LBB1_170:                              ;   in Loop: Header=BB1_6 Depth=2
	s_andn2_saveexec_b64 s[4:5], s[4:5]
	s_cbranch_execz .LBB1_172
; %bb.171:                              ;   in Loop: Header=BB1_6 Depth=2
	v_cndmask_b32_e64 v6, 2, 1, s[2:3]
	global_store_dword v[24:25], v10, off offset:8
.LBB1_172:                              ;   in Loop: Header=BB1_6 Depth=2
	s_or_b64 exec, exec, s[4:5]
                                        ; implicit-def: $vgpr11
.LBB1_173:                              ;   in Loop: Header=BB1_6 Depth=2
	s_andn2_saveexec_b64 s[4:5], s[36:37]
	s_cbranch_execz .LBB1_175
; %bb.174:                              ;   in Loop: Header=BB1_6 Depth=2
	v_cndmask_b32_e64 v7, 1, 2, vcc
	global_store_dword v[24:25], v11, off offset:8
.LBB1_175:                              ;   in Loop: Header=BB1_6 Depth=2
	s_or_b64 exec, exec, s[4:5]
                                        ; implicit-def: $vgpr10
.LBB1_176:                              ;   in Loop: Header=BB1_6 Depth=2
	s_andn2_saveexec_b64 s[4:5], s[34:35]
	s_cbranch_execz .LBB1_178
; %bb.177:                              ;   in Loop: Header=BB1_6 Depth=2
	v_mov_b32_e32 v7, 1
	v_cndmask_b32_e64 v6, 2, 1, s[2:3]
	global_store_dword v[24:25], v10, off offset:8
.LBB1_178:                              ;   in Loop: Header=BB1_6 Depth=2
	s_or_b64 exec, exec, s[4:5]
	s_mov_b64 s[34:35], exec
	s_andn2_saveexec_b64 s[2:3], s[30:31]
	s_cbranch_execnz .LBB1_242
.LBB1_179:                              ;   in Loop: Header=BB1_6 Depth=2
	s_or_b64 exec, exec, s[2:3]
	v_bfrev_b32_e32 v11, 16
	s_and_saveexec_b64 s[2:3], s[34:35]
	s_cbranch_execnz .LBB1_245
.LBB1_180:                              ;   in Loop: Header=BB1_6 Depth=2
	s_or_b64 exec, exec, s[2:3]
	s_mov_b64 s[0:1], s[24:25]
                                        ; implicit-def: $vgpr43
	s_and_saveexec_b64 s[2:3], s[28:29]
	s_cbranch_execz .LBB1_182
.LBB1_181:                              ;   in Loop: Header=BB1_6 Depth=2
	global_load_dword v6, v[24:25], off offset:20
	s_or_b64 s[0:1], s[24:25], exec
	s_waitcnt vmcnt(0)
	v_and_or_b32 v43, v6, s70, v11
	global_store_dword v[24:25], v43, off offset:20
.LBB1_182:                              ;   in Loop: Header=BB1_6 Depth=2
	s_or_b64 exec, exec, s[2:3]
	s_andn2_b64 s[2:3], s[24:25], exec
	s_and_b64 s[0:1], s[0:1], exec
	s_or_b64 s[24:25], s[2:3], s[0:1]
	s_or_b64 exec, exec, s[26:27]
	v_mov_b32_e32 v6, 7
	s_and_saveexec_b64 s[4:5], s[24:25]
	s_cbranch_execz .LBB1_495
.LBB1_183:                              ;   in Loop: Header=BB1_6 Depth=2
	v_bfe_u32 v28, v43, 27, 4
	s_mov_b32 s56, 0
	v_cmp_ne_u32_e32 vcc, 0, v28
	s_mov_b64 s[24:25], 0
	global_store_dword v[24:25], v40, off
	global_store_byte v[24:25], v30, off offset:24
                                        ; implicit-def: $sgpr26_sgpr27
                                        ; implicit-def: $sgpr28_sgpr29
	s_branch .LBB1_185
.LBB1_184:                              ;   in Loop: Header=BB1_185 Depth=3
	s_or_b64 exec, exec, s[30:31]
	s_and_b64 s[0:1], exec, s[2:3]
	s_or_b64 s[24:25], s[0:1], s[24:25]
	s_andn2_b64 s[0:1], s[26:27], exec
	s_and_b64 s[2:3], s[28:29], exec
	s_or_b64 s[26:27], s[0:1], s[2:3]
	s_andn2_b64 exec, exec, s[24:25]
	s_cbranch_execz .LBB1_260
.LBB1_185:                              ;   Parent Loop BB1_3 Depth=1
                                        ;     Parent Loop BB1_6 Depth=2
                                        ; =>    This Loop Header: Depth=3
                                        ;         Child Loop BB1_193 Depth 4
                                        ;           Child Loop BB1_194 Depth 5
                                        ;         Child Loop BB1_209 Depth 4
                                        ;           Child Loop BB1_210 Depth 5
	v_cmp_eq_u32_e64 s[0:1], s56, v39
	v_cmp_ne_u32_e64 s[2:3], s56, v39
	s_and_saveexec_b64 s[30:31], s[2:3]
	s_cbranch_execz .LBB1_222
; %bb.186:                              ;   in Loop: Header=BB1_185 Depth=3
	v_mad_u64_u32 v[6:7], s[2:3], s56, 28, v[14:15]
	global_load_ubyte v10, v[6:7], off offset:24
	s_mov_b64 s[36:37], -1
	s_waitcnt vmcnt(0)
	v_and_b32_e32 v10, 1, v10
	v_cmp_eq_u32_e64 s[2:3], 1, v10
	s_and_saveexec_b64 s[34:35], s[2:3]
	s_cbranch_execz .LBB1_221
; %bb.187:                              ;   in Loop: Header=BB1_185 Depth=3
	global_load_dword v11, v[6:7], off offset:20
	global_load_dword v13, v[6:7], off
	s_mov_b64 s[36:37], 0
	s_waitcnt vmcnt(1)
	v_bfe_u32 v10, v11, 27, 4
	s_waitcnt vmcnt(0)
	v_and_b32_e32 v12, v40, v13
	v_cmp_le_u32_e64 s[2:3], v10, v28
	s_and_saveexec_b64 s[38:39], s[2:3]
	s_xor_b64 s[38:39], exec, s[38:39]
	s_cbranch_execz .LBB1_203
; %bb.188:                              ;   in Loop: Header=BB1_185 Depth=3
	v_cmp_eq_u32_e64 s[2:3], v12, v13
	s_mov_b64 s[40:41], -1
	s_and_saveexec_b64 s[36:37], s[2:3]
	s_cbranch_execz .LBB1_202
; %bb.189:                              ;   in Loop: Header=BB1_185 Depth=3
	global_load_dwordx4 v[44:47], v[24:25], off
	global_load_dwordx4 v[48:51], v[24:25], off offset:12
	global_load_dwordx4 v[52:55], v[6:7], off offset:4
	v_cmp_ne_u32_e64 s[2:3], 0, v10
	s_mov_b64 s[42:43], 0
	scratch_store_dword off, v11, off offset:188
	scratch_store_byte off, v30, off offset:192
	s_waitcnt vmcnt(4)
	scratch_store_dwordx4 off, v[44:47], off offset:196
	s_waitcnt vmcnt(4)
	scratch_store_dwordx4 off, v[48:51], off offset:208
	;; [unrolled: 2-line block ×3, first 2 shown]
	s_and_saveexec_b64 s[40:41], s[2:3]
	s_cbranch_execz .LBB1_201
; %bb.190:                              ;   in Loop: Header=BB1_185 Depth=3
	scratch_load_dword v6, off, off offset:216
	s_mov_b64 s[44:45], -1
	s_waitcnt vmcnt(0)
	v_bfe_u32 v6, v6, 27, 4
	v_cmp_ne_u32_e64 s[2:3], 0, v6
	s_and_saveexec_b64 s[42:43], s[2:3]
	s_cbranch_execz .LBB1_198
; %bb.191:                              ;   in Loop: Header=BB1_185 Depth=3
	s_mov_b32 s54, 0
	s_mov_b64 s[44:45], 0
                                        ; implicit-def: $sgpr46_sgpr47
                                        ; implicit-def: $sgpr48_sgpr49
	s_branch .LBB1_193
.LBB1_192:                              ;   in Loop: Header=BB1_193 Depth=4
	s_or_b64 exec, exec, s[52:53]
	s_and_b64 s[2:3], exec, s[50:51]
	s_or_b64 s[44:45], s[2:3], s[44:45]
	s_andn2_b64 s[2:3], s[46:47], exec
	s_and_b64 s[46:47], s[48:49], exec
	s_or_b64 s[46:47], s[2:3], s[46:47]
	s_andn2_b64 exec, exec, s[44:45]
	s_cbranch_execz .LBB1_197
.LBB1_193:                              ;   Parent Loop BB1_3 Depth=1
                                        ;     Parent Loop BB1_6 Depth=2
                                        ;       Parent Loop BB1_185 Depth=3
                                        ; =>      This Loop Header: Depth=4
                                        ;           Child Loop BB1_194 Depth 5
	s_lshl_b32 s2, s54, 2
	s_addk_i32 s2, 0xa8
	scratch_load_dword v11, off, s2 offset:4
	v_mov_b32_e32 v7, 0
	s_mov_b64 s[50:51], 0
	v_mov_b32_e32 v12, v6
	s_mov_b32 s52, s62
.LBB1_194:                              ;   Parent Loop BB1_3 Depth=1
                                        ;     Parent Loop BB1_6 Depth=2
                                        ;       Parent Loop BB1_185 Depth=3
                                        ;         Parent Loop BB1_193 Depth=4
                                        ; =>        This Inner Loop Header: Depth=5
	scratch_load_dword v13, off, s52
	v_add_u32_e32 v12, -1, v12
	s_add_i32 s52, s52, 4
	v_cmp_eq_u32_e64 s[2:3], 0, v12
	s_or_b64 s[50:51], s[2:3], s[50:51]
	s_waitcnt vmcnt(0)
	v_cmp_ne_u32_e64 s[2:3], v13, v11
	s_nop 1
	v_cndmask_b32_e64 v7, 1, v7, s[2:3]
	s_andn2_b64 exec, exec, s[50:51]
	s_cbranch_execnz .LBB1_194
; %bb.195:                              ;   in Loop: Header=BB1_193 Depth=4
	s_or_b64 exec, exec, s[50:51]
	v_cmp_ne_u32_e64 s[2:3], 0, v7
	s_mov_b64 s[50:51], -1
	s_or_b64 s[48:49], s[48:49], exec
	s_and_saveexec_b64 s[52:53], s[2:3]
	s_cbranch_execz .LBB1_192
; %bb.196:                              ;   in Loop: Header=BB1_193 Depth=4
	s_add_i32 s54, s54, 1
	v_cmp_eq_u32_e64 s[2:3], s54, v10
	s_andn2_b64 s[48:49], s[48:49], exec
	s_orn2_b64 s[50:51], s[2:3], exec
	s_branch .LBB1_192
.LBB1_197:                              ;   in Loop: Header=BB1_185 Depth=3
	s_or_b64 exec, exec, s[44:45]
	s_orn2_b64 s[44:45], s[46:47], exec
.LBB1_198:                              ;   in Loop: Header=BB1_185 Depth=3
	s_or_b64 exec, exec, s[42:43]
	s_mov_b64 s[2:3], 0
	s_and_saveexec_b64 s[42:43], s[44:45]
	s_xor_b64 s[42:43], exec, s[42:43]
; %bb.199:                              ;   in Loop: Header=BB1_185 Depth=3
	s_mov_b64 s[2:3], exec
; %bb.200:                              ;   in Loop: Header=BB1_185 Depth=3
	s_or_b64 exec, exec, s[42:43]
	s_and_b64 s[42:43], s[2:3], exec
.LBB1_201:                              ;   in Loop: Header=BB1_185 Depth=3
	s_or_b64 exec, exec, s[40:41]
	s_orn2_b64 s[40:41], s[42:43], exec
.LBB1_202:                              ;   in Loop: Header=BB1_185 Depth=3
	s_or_b64 exec, exec, s[36:37]
	s_and_b64 s[36:37], s[40:41], exec
                                        ; implicit-def: $vgpr12
                                        ; implicit-def: $vgpr6_vgpr7
.LBB1_203:                              ;   in Loop: Header=BB1_185 Depth=3
	s_andn2_saveexec_b64 s[38:39], s[38:39]
	s_cbranch_execz .LBB1_220
; %bb.204:                              ;   in Loop: Header=BB1_185 Depth=3
	v_cmp_eq_u32_e64 s[2:3], v12, v40
	s_and_saveexec_b64 s[40:41], s[2:3]
	s_cbranch_execz .LBB1_219
; %bb.205:                              ;   in Loop: Header=BB1_185 Depth=3
	global_load_dwordx4 v[10:13], v[6:7], off
	global_load_dwordx4 v[44:47], v[6:7], off offset:12
	global_load_dwordx4 v[48:51], v[24:25], off offset:4
	global_load_ubyte v52, v[24:25], off offset:24
	s_mov_b64 s[2:3], -1
	scratch_store_dword off, v43, off offset:244
	s_waitcnt vmcnt(4)
	scratch_store_dwordx4 off, v[10:13], off offset:252
	s_waitcnt vmcnt(4)
	scratch_store_dwordx4 off, v[44:47], off offset:264
	;; [unrolled: 2-line block ×3, first 2 shown]
	s_waitcnt vmcnt(4)
	scratch_store_byte off, v52, off offset:248
	s_and_saveexec_b64 s[42:43], vcc
	s_cbranch_execz .LBB1_217
; %bb.206:                              ;   in Loop: Header=BB1_185 Depth=3
	scratch_load_dword v10, off, off offset:272
	s_mov_b64 s[48:49], -1
	s_mov_b64 s[46:47], 0
	s_waitcnt vmcnt(0)
	v_bfe_u32 v10, v10, 27, 4
	v_cmp_ne_u32_e64 s[2:3], 0, v10
	s_and_saveexec_b64 s[44:45], s[2:3]
	s_cbranch_execz .LBB1_214
; %bb.207:                              ;   in Loop: Header=BB1_185 Depth=3
	s_mov_b32 s57, 0
                                        ; implicit-def: $sgpr48_sgpr49
                                        ; implicit-def: $sgpr50_sgpr51
	s_branch .LBB1_209
.LBB1_208:                              ;   in Loop: Header=BB1_209 Depth=4
	s_or_b64 exec, exec, s[54:55]
	s_and_b64 s[2:3], exec, s[52:53]
	s_or_b64 s[46:47], s[2:3], s[46:47]
	s_andn2_b64 s[2:3], s[48:49], exec
	s_and_b64 s[48:49], s[50:51], exec
	s_or_b64 s[48:49], s[2:3], s[48:49]
	s_andn2_b64 exec, exec, s[46:47]
	s_cbranch_execz .LBB1_213
.LBB1_209:                              ;   Parent Loop BB1_3 Depth=1
                                        ;     Parent Loop BB1_6 Depth=2
                                        ;       Parent Loop BB1_185 Depth=3
                                        ; =>      This Loop Header: Depth=4
                                        ;           Child Loop BB1_210 Depth 5
	s_lshl_b32 s2, s57, 2
	s_addk_i32 s2, 0xe0
	scratch_load_dword v12, off, s2 offset:4
	v_mov_b32_e32 v11, 0
	s_mov_b64 s[52:53], 0
	v_mov_b32_e32 v13, v10
	s_mov_b32 s54, s63
.LBB1_210:                              ;   Parent Loop BB1_3 Depth=1
                                        ;     Parent Loop BB1_6 Depth=2
                                        ;       Parent Loop BB1_185 Depth=3
                                        ;         Parent Loop BB1_209 Depth=4
                                        ; =>        This Inner Loop Header: Depth=5
	scratch_load_dword v44, off, s54
	v_add_u32_e32 v13, -1, v13
	s_add_i32 s54, s54, 4
	v_cmp_eq_u32_e64 s[2:3], 0, v13
	s_or_b64 s[52:53], s[2:3], s[52:53]
	s_waitcnt vmcnt(0)
	v_cmp_ne_u32_e64 s[2:3], v44, v12
	s_nop 1
	v_cndmask_b32_e64 v11, 1, v11, s[2:3]
	s_andn2_b64 exec, exec, s[52:53]
	s_cbranch_execnz .LBB1_210
; %bb.211:                              ;   in Loop: Header=BB1_209 Depth=4
	s_or_b64 exec, exec, s[52:53]
	v_cmp_ne_u32_e64 s[2:3], 0, v11
	s_mov_b64 s[52:53], -1
	s_or_b64 s[50:51], s[50:51], exec
	s_and_saveexec_b64 s[54:55], s[2:3]
	s_cbranch_execz .LBB1_208
; %bb.212:                              ;   in Loop: Header=BB1_209 Depth=4
	s_add_i32 s57, s57, 1
	v_cmp_eq_u32_e64 s[2:3], s57, v28
	s_andn2_b64 s[50:51], s[50:51], exec
	s_orn2_b64 s[52:53], s[2:3], exec
	s_branch .LBB1_208
.LBB1_213:                              ;   in Loop: Header=BB1_185 Depth=3
	s_or_b64 exec, exec, s[46:47]
	s_mov_b64 s[46:47], exec
	s_orn2_b64 s[48:49], s[48:49], exec
.LBB1_214:                              ;   in Loop: Header=BB1_185 Depth=3
	s_or_b64 exec, exec, s[44:45]
	s_and_saveexec_b64 s[2:3], s[48:49]
; %bb.215:                              ;   in Loop: Header=BB1_185 Depth=3
	s_andn2_b64 s[46:47], s[46:47], exec
; %bb.216:                              ;   in Loop: Header=BB1_185 Depth=3
	s_or_b64 exec, exec, s[2:3]
	s_orn2_b64 s[2:3], s[46:47], exec
.LBB1_217:                              ;   in Loop: Header=BB1_185 Depth=3
	s_or_b64 exec, exec, s[42:43]
	s_and_b64 exec, exec, s[2:3]
	s_cbranch_execz .LBB1_219
; %bb.218:                              ;   in Loop: Header=BB1_185 Depth=3
	global_store_byte v[6:7], v31, off offset:24
.LBB1_219:                              ;   in Loop: Header=BB1_185 Depth=3
	s_or_b64 exec, exec, s[40:41]
	s_or_b64 s[36:37], s[36:37], exec
.LBB1_220:                              ;   in Loop: Header=BB1_185 Depth=3
	s_or_b64 exec, exec, s[38:39]
	s_orn2_b64 s[36:37], s[36:37], exec
.LBB1_221:                              ;   in Loop: Header=BB1_185 Depth=3
	s_or_b64 exec, exec, s[34:35]
	s_andn2_b64 s[0:1], s[0:1], exec
	s_and_b64 s[2:3], s[36:37], exec
	s_or_b64 s[0:1], s[0:1], s[2:3]
.LBB1_222:                              ;   in Loop: Header=BB1_185 Depth=3
	s_or_b64 exec, exec, s[30:31]
	s_mov_b64 s[2:3], -1
	s_or_b64 s[28:29], s[28:29], exec
	s_and_saveexec_b64 s[30:31], s[0:1]
	s_cbranch_execz .LBB1_184
; %bb.223:                              ;   in Loop: Header=BB1_185 Depth=3
	s_add_i32 s56, s56, 1
	s_cmp_eq_u32 s56, 8
	s_cselect_b64 s[0:1], -1, 0
	s_andn2_b64 s[28:29], s[28:29], exec
	s_orn2_b64 s[2:3], s[0:1], exec
	s_branch .LBB1_184
.LBB1_224:                              ;   in Loop: Header=BB1_6 Depth=2
	s_andn2_saveexec_b64 s[24:25], s[24:25]
	s_cbranch_execz .LBB1_159
.LBB1_225:                              ;   in Loop: Header=BB1_6 Depth=2
	v_cmp_ne_u32_e32 vcc, 0, v42
	s_andn2_b64 s[0:1], s[0:1], exec
	s_and_b64 s[26:27], vcc, exec
	s_mov_b64 s[4:5], exec
	v_mov_b32_e32 v6, 0
	v_mov_b32_e32 v7, 1
	s_or_b64 s[0:1], s[0:1], s[26:27]
	s_or_b64 exec, exec, s[24:25]
	v_mov_b32_e32 v12, 0
	s_and_saveexec_b64 s[24:25], s[0:1]
	s_cbranch_execz .LBB1_160
.LBB1_226:                              ;   in Loop: Header=BB1_6 Depth=2
	v_cmp_ne_u32_e64 s[0:1], v6, v41
	v_cmp_ne_u32_e32 vcc, v7, v42
	s_mov_b64 s[26:27], 0
	s_mov_b64 s[30:31], 0
	global_store_dword v[24:25], v11, off offset:4
                                        ; implicit-def: $vgpr10
	s_and_saveexec_b64 s[28:29], s[0:1]
	s_xor_b64 s[28:29], exec, s[28:29]
	s_cbranch_execz .LBB1_268
; %bb.227:                              ;   in Loop: Header=BB1_6 Depth=2
	v_lshl_add_u32 v12, v6, 2, v34
                                        ; implicit-def: $vgpr10
	s_and_saveexec_b64 s[0:1], vcc
	s_xor_b64 s[30:31], exec, s[0:1]
	s_cbranch_execz .LBB1_237
; %bb.228:                              ;   in Loop: Header=BB1_6 Depth=2
	v_lshl_add_u32 v10, v7, 2, v33
	ds_read_b32 v11, v10 offset:4
	ds_read_b32 v12, v12 offset:4
                                        ; implicit-def: $vgpr10
	s_waitcnt lgkmcnt(0)
	v_cmp_ge_i32_e64 s[0:1], v11, v12
	s_and_saveexec_b64 s[34:35], s[0:1]
	s_xor_b64 s[34:35], exec, s[34:35]
	s_cbranch_execz .LBB1_234
; %bb.229:                              ;   in Loop: Header=BB1_6 Depth=2
	v_cmp_le_i32_e64 s[0:1], v11, v12
                                        ; implicit-def: $vgpr10
	s_and_saveexec_b64 s[36:37], s[0:1]
	s_xor_b64 s[0:1], exec, s[36:37]
	s_cbranch_execz .LBB1_231
; %bb.230:                              ;   in Loop: Header=BB1_6 Depth=2
	v_add_u32_e32 v10, 1, v7
	v_add_u32_e32 v6, 1, v6
	global_store_dword v[24:25], v11, off offset:8
                                        ; implicit-def: $vgpr12
                                        ; implicit-def: $vgpr7
.LBB1_231:                              ;   in Loop: Header=BB1_6 Depth=2
	s_andn2_saveexec_b64 s[0:1], s[0:1]
	s_cbranch_execz .LBB1_233
; %bb.232:                              ;   in Loop: Header=BB1_6 Depth=2
	v_add_u32_e32 v6, 1, v6
	v_mov_b32_e32 v10, v7
	global_store_dword v[24:25], v12, off offset:8
.LBB1_233:                              ;   in Loop: Header=BB1_6 Depth=2
	s_or_b64 exec, exec, s[0:1]
                                        ; implicit-def: $vgpr7
                                        ; implicit-def: $vgpr11
.LBB1_234:                              ;   in Loop: Header=BB1_6 Depth=2
	s_andn2_saveexec_b64 s[0:1], s[34:35]
	s_cbranch_execz .LBB1_236
; %bb.235:                              ;   in Loop: Header=BB1_6 Depth=2
	v_add_u32_e32 v10, 1, v7
	global_store_dword v[24:25], v11, off offset:8
.LBB1_236:                              ;   in Loop: Header=BB1_6 Depth=2
	s_or_b64 exec, exec, s[0:1]
                                        ; implicit-def: $vgpr12
.LBB1_237:                              ;   in Loop: Header=BB1_6 Depth=2
	s_andn2_saveexec_b64 s[0:1], s[30:31]
	s_cbranch_execz .LBB1_239
; %bb.238:                              ;   in Loop: Header=BB1_6 Depth=2
	ds_read_b32 v7, v12 offset:4
	v_add_u32_e32 v6, 1, v6
	v_mov_b32_e32 v10, v42
	s_waitcnt lgkmcnt(0)
	global_store_dword v[24:25], v7, off offset:8
.LBB1_239:                              ;   in Loop: Header=BB1_6 Depth=2
	s_or_b64 exec, exec, s[0:1]
	s_mov_b64 s[30:31], exec
                                        ; implicit-def: $vgpr7
	s_andn2_saveexec_b64 s[0:1], s[28:29]
	s_cbranch_execnz .LBB1_269
.LBB1_240:                              ;   in Loop: Header=BB1_6 Depth=2
	s_or_b64 exec, exec, s[0:1]
	v_bfrev_b32_e32 v12, 16
	s_and_saveexec_b64 s[28:29], s[30:31]
	s_cbranch_execnz .LBB1_272
	s_branch .LBB1_343
.LBB1_241:                              ;   in Loop: Header=BB1_6 Depth=2
	s_andn2_saveexec_b64 s[2:3], s[30:31]
	s_cbranch_execz .LBB1_179
.LBB1_242:                              ;   in Loop: Header=BB1_6 Depth=2
	s_mov_b64 s[28:29], -1
	s_mov_b64 s[4:5], s[34:35]
                                        ; implicit-def: $vgpr7
	s_and_saveexec_b64 s[30:31], s[0:1]
	s_cbranch_execz .LBB1_244
; %bb.243:                              ;   in Loop: Header=BB1_6 Depth=2
	v_cndmask_b32_e64 v7, 1, 2, vcc
	v_cndmask_b32_e32 v6, v1, v2, vcc
	s_xor_b64 s[28:29], exec, -1
	s_or_b64 s[4:5], s[34:35], exec
	global_store_dword v[24:25], v6, off offset:8
.LBB1_244:                              ;   in Loop: Header=BB1_6 Depth=2
	s_or_b64 exec, exec, s[30:31]
	s_andn2_b64 s[0:1], s[34:35], exec
	s_and_b64 s[4:5], s[4:5], exec
	s_and_b64 s[28:29], s[28:29], exec
	s_or_b64 s[34:35], s[0:1], s[4:5]
	v_mov_b32_e32 v6, v42
	s_or_b64 exec, exec, s[2:3]
	v_bfrev_b32_e32 v11, 16
	s_and_saveexec_b64 s[2:3], s[34:35]
	s_cbranch_execz .LBB1_180
.LBB1_245:                              ;   in Loop: Header=BB1_6 Depth=2
	v_cmp_ne_u32_e64 s[0:1], v6, v42
	v_cmp_ne_u32_e32 vcc, v7, v41
	s_mov_b64 s[34:35], 0
                                        ; implicit-def: $vgpr10
	s_and_saveexec_b64 s[4:5], s[0:1]
	s_xor_b64 s[4:5], exec, s[4:5]
	s_cbranch_execz .LBB1_287
; %bb.246:                              ;   in Loop: Header=BB1_6 Depth=2
	v_lshlrev_b32_e32 v12, 2, v6
                                        ; implicit-def: $vgpr10
	s_and_saveexec_b64 s[0:1], vcc
	s_xor_b64 s[30:31], exec, s[0:1]
	s_cbranch_execz .LBB1_256
; %bb.247:                              ;   in Loop: Header=BB1_6 Depth=2
	v_lshlrev_b32_e32 v10, 2, v7
	scratch_load_dword v11, v10, off offset:284
	s_nop 0
	scratch_load_dword v12, v12, off offset:312
                                        ; implicit-def: $vgpr10
	s_waitcnt vmcnt(0)
	v_cmp_ge_i32_e64 s[0:1], v11, v12
	s_and_saveexec_b64 s[34:35], s[0:1]
	s_xor_b64 s[34:35], exec, s[34:35]
	s_cbranch_execz .LBB1_253
; %bb.248:                              ;   in Loop: Header=BB1_6 Depth=2
	v_cmp_le_i32_e64 s[0:1], v11, v12
                                        ; implicit-def: $vgpr10
	s_and_saveexec_b64 s[36:37], s[0:1]
	s_xor_b64 s[0:1], exec, s[36:37]
	s_cbranch_execz .LBB1_250
; %bb.249:                              ;   in Loop: Header=BB1_6 Depth=2
	v_add_u32_e32 v10, 1, v7
	v_add_u32_e32 v6, 1, v6
	global_store_dword v[24:25], v11, off offset:12
                                        ; implicit-def: $vgpr12
                                        ; implicit-def: $vgpr7
.LBB1_250:                              ;   in Loop: Header=BB1_6 Depth=2
	s_andn2_saveexec_b64 s[0:1], s[0:1]
	s_cbranch_execz .LBB1_252
; %bb.251:                              ;   in Loop: Header=BB1_6 Depth=2
	v_add_u32_e32 v6, 1, v6
	v_mov_b32_e32 v10, v7
	global_store_dword v[24:25], v12, off offset:12
.LBB1_252:                              ;   in Loop: Header=BB1_6 Depth=2
	s_or_b64 exec, exec, s[0:1]
                                        ; implicit-def: $vgpr7
                                        ; implicit-def: $vgpr11
.LBB1_253:                              ;   in Loop: Header=BB1_6 Depth=2
	s_andn2_saveexec_b64 s[0:1], s[34:35]
	s_cbranch_execz .LBB1_255
; %bb.254:                              ;   in Loop: Header=BB1_6 Depth=2
	v_add_u32_e32 v10, 1, v7
	global_store_dword v[24:25], v11, off offset:12
.LBB1_255:                              ;   in Loop: Header=BB1_6 Depth=2
	s_or_b64 exec, exec, s[0:1]
                                        ; implicit-def: $vgpr12
.LBB1_256:                              ;   in Loop: Header=BB1_6 Depth=2
	s_andn2_saveexec_b64 s[0:1], s[30:31]
	s_cbranch_execz .LBB1_258
; %bb.257:                              ;   in Loop: Header=BB1_6 Depth=2
	scratch_load_dword v7, v12, off offset:312
	v_add_u32_e32 v6, 1, v6
	v_mov_b32_e32 v10, v41
	s_waitcnt vmcnt(0)
	global_store_dword v[24:25], v7, off offset:12
.LBB1_258:                              ;   in Loop: Header=BB1_6 Depth=2
	s_or_b64 exec, exec, s[0:1]
	s_mov_b64 s[34:35], exec
                                        ; implicit-def: $vgpr7
	s_or_saveexec_b64 s[0:1], s[4:5]
	s_mov_b64 s[4:5], s[28:29]
	s_xor_b64 exec, exec, s[0:1]
	s_cbranch_execnz .LBB1_288
.LBB1_259:                              ;   in Loop: Header=BB1_6 Depth=2
	s_or_b64 exec, exec, s[0:1]
	v_bfrev_b32_e32 v11, 8
	s_and_saveexec_b64 s[30:31], s[34:35]
	s_cbranch_execnz .LBB1_291
	s_branch .LBB1_352
.LBB1_260:                              ;   in Loop: Header=BB1_6 Depth=2
	s_or_b64 exec, exec, s[24:25]
	s_xor_b64 s[0:1], s[26:27], -1
                                        ; implicit-def: $vgpr6
	s_and_saveexec_b64 s[2:3], s[0:1]
	s_xor_b64 s[24:25], exec, s[2:3]
	s_cbranch_execz .LBB1_492
; %bb.261:                              ;   in Loop: Header=BB1_6 Depth=2
	global_load_dwordx4 v[10:13], v[24:25], off offset:4
	global_load_ubyte v44, v[24:25], off offset:24
	global_load_dword v45, v[16:17], off offset:4
	global_load_dword v40, v[18:19], off offset:4
	v_mov_b32_e32 v6, v8
	v_mov_b32_e32 v7, v9
	scratch_store_dword off, v29, off offset:132
	s_waitcnt vmcnt(7)
	scratch_store_byte off, v0, off offset:136
	scratch_store_dword off, v43, off offset:160
	scratch_store_dwordx4 off, v[4:7], off offset:116
	s_waitcnt vmcnt(7)
	scratch_store_dwordx4 off, v[10:13], off offset:144
	s_waitcnt vmcnt(7)
	scratch_store_byte off, v44, off offset:164
	v_mov_b32_e32 v0, 0
	s_and_saveexec_b64 s[26:27], vcc
	s_cbranch_execz .LBB1_307
; %bb.262:                              ;   in Loop: Header=BB1_6 Depth=2
	s_mov_b32 s36, 0
	v_cmp_ne_u32_e64 s[0:1], 0, v42
	s_mov_b64 s[28:29], 0
	v_mov_b32_e32 v0, 0
	s_branch .LBB1_264
.LBB1_263:                              ;   in Loop: Header=BB1_264 Depth=3
	s_or_b64 exec, exec, s[30:31]
	s_add_i32 s36, s36, 1
	v_cmp_eq_u32_e64 s[2:3], s36, v28
	s_or_b64 s[28:29], s[2:3], s[28:29]
	s_andn2_b64 exec, exec, s[28:29]
	s_cbranch_execz .LBB1_306
.LBB1_264:                              ;   Parent Loop BB1_3 Depth=1
                                        ;     Parent Loop BB1_6 Depth=2
                                        ; =>    This Loop Header: Depth=3
                                        ;         Child Loop BB1_266 Depth 4
	s_and_saveexec_b64 s[30:31], s[0:1]
	s_cbranch_execz .LBB1_263
; %bb.265:                              ;   in Loop: Header=BB1_264 Depth=3
	s_lshl_b32 s2, s36, 2
	s_addk_i32 s2, 0x8c
	scratch_load_dword v4, off, s2 offset:4
	s_lshl_b32 s37, 1, s36
	s_mov_b64 s[34:35], 0
	v_mov_b32_e32 v5, v42
	s_mov_b32 s38, s60
.LBB1_266:                              ;   Parent Loop BB1_3 Depth=1
                                        ;     Parent Loop BB1_6 Depth=2
                                        ;       Parent Loop BB1_264 Depth=3
                                        ; =>      This Inner Loop Header: Depth=4
	scratch_load_dword v6, off, s38
	v_add_u32_e32 v5, -1, v5
	s_add_i32 s38, s38, 4
	v_cmp_eq_u32_e64 s[2:3], 0, v5
	v_mov_b32_e32 v7, s37
	s_or_b64 s[34:35], s[2:3], s[34:35]
	s_waitcnt vmcnt(0)
	v_cmp_eq_u32_e64 s[2:3], v6, v4
	s_nop 1
	v_cndmask_b32_e64 v6, 0, v7, s[2:3]
	v_or_b32_e32 v0, v6, v0
	s_andn2_b64 exec, exec, s[34:35]
	s_cbranch_execnz .LBB1_266
; %bb.267:                              ;   in Loop: Header=BB1_264 Depth=3
	s_or_b64 exec, exec, s[34:35]
	s_branch .LBB1_263
.LBB1_268:                              ;   in Loop: Header=BB1_6 Depth=2
	s_andn2_saveexec_b64 s[0:1], s[28:29]
	s_cbranch_execz .LBB1_240
.LBB1_269:                              ;   in Loop: Header=BB1_6 Depth=2
	s_mov_b64 s[26:27], -1
	s_mov_b64 s[28:29], s[30:31]
                                        ; implicit-def: $vgpr10
	s_and_saveexec_b64 s[34:35], vcc
	s_cbranch_execz .LBB1_271
; %bb.270:                              ;   in Loop: Header=BB1_6 Depth=2
	v_lshl_add_u32 v6, v7, 2, v33
	ds_read_b32 v6, v6 offset:4
	v_add_u32_e32 v10, 1, v7
	s_xor_b64 s[26:27], exec, -1
	s_or_b64 s[28:29], s[30:31], exec
	s_waitcnt lgkmcnt(0)
	global_store_dword v[24:25], v6, off offset:8
.LBB1_271:                              ;   in Loop: Header=BB1_6 Depth=2
	s_or_b64 exec, exec, s[34:35]
	s_andn2_b64 s[30:31], s[30:31], exec
	s_and_b64 s[28:29], s[28:29], exec
	s_and_b64 s[26:27], s[26:27], exec
	s_or_b64 s[30:31], s[30:31], s[28:29]
	v_mov_b32_e32 v6, v41
	s_or_b64 exec, exec, s[0:1]
	v_bfrev_b32_e32 v12, 16
	s_and_saveexec_b64 s[28:29], s[30:31]
	s_cbranch_execz .LBB1_343
.LBB1_272:                              ;   in Loop: Header=BB1_6 Depth=2
	v_cmp_ne_u32_e64 s[0:1], v6, v41
	v_cmp_ne_u32_e32 vcc, v10, v42
	s_mov_b64 s[36:37], 0
                                        ; implicit-def: $vgpr7
	s_and_saveexec_b64 s[30:31], s[0:1]
	s_xor_b64 s[30:31], exec, s[30:31]
	s_cbranch_execz .LBB1_321
; %bb.273:                              ;   in Loop: Header=BB1_6 Depth=2
	v_lshl_add_u32 v12, v6, 2, v34
                                        ; implicit-def: $vgpr7
	s_and_saveexec_b64 s[0:1], vcc
	s_xor_b64 s[34:35], exec, s[0:1]
	s_cbranch_execz .LBB1_283
; %bb.274:                              ;   in Loop: Header=BB1_6 Depth=2
	v_lshl_add_u32 v7, v10, 2, v33
	ds_read_b32 v11, v7 offset:4
	ds_read_b32 v12, v12 offset:4
                                        ; implicit-def: $vgpr7
	s_waitcnt lgkmcnt(0)
	v_cmp_ge_i32_e64 s[0:1], v11, v12
	s_and_saveexec_b64 s[36:37], s[0:1]
	s_xor_b64 s[36:37], exec, s[36:37]
	s_cbranch_execz .LBB1_280
; %bb.275:                              ;   in Loop: Header=BB1_6 Depth=2
	v_cmp_le_i32_e64 s[0:1], v11, v12
                                        ; implicit-def: $vgpr7
	s_and_saveexec_b64 s[38:39], s[0:1]
	s_xor_b64 s[0:1], exec, s[38:39]
	s_cbranch_execz .LBB1_277
; %bb.276:                              ;   in Loop: Header=BB1_6 Depth=2
	v_add_u32_e32 v7, 1, v10
	v_add_u32_e32 v6, 1, v6
	global_store_dword v[24:25], v11, off offset:12
                                        ; implicit-def: $vgpr12
                                        ; implicit-def: $vgpr10
.LBB1_277:                              ;   in Loop: Header=BB1_6 Depth=2
	s_andn2_saveexec_b64 s[0:1], s[0:1]
	s_cbranch_execz .LBB1_279
; %bb.278:                              ;   in Loop: Header=BB1_6 Depth=2
	v_add_u32_e32 v6, 1, v6
	v_mov_b32_e32 v7, v10
	global_store_dword v[24:25], v12, off offset:12
.LBB1_279:                              ;   in Loop: Header=BB1_6 Depth=2
	s_or_b64 exec, exec, s[0:1]
                                        ; implicit-def: $vgpr10
                                        ; implicit-def: $vgpr11
.LBB1_280:                              ;   in Loop: Header=BB1_6 Depth=2
	s_andn2_saveexec_b64 s[0:1], s[36:37]
	s_cbranch_execz .LBB1_282
; %bb.281:                              ;   in Loop: Header=BB1_6 Depth=2
	v_add_u32_e32 v7, 1, v10
	global_store_dword v[24:25], v11, off offset:12
.LBB1_282:                              ;   in Loop: Header=BB1_6 Depth=2
	s_or_b64 exec, exec, s[0:1]
                                        ; implicit-def: $vgpr12
.LBB1_283:                              ;   in Loop: Header=BB1_6 Depth=2
	s_andn2_saveexec_b64 s[0:1], s[34:35]
	s_cbranch_execz .LBB1_285
; %bb.284:                              ;   in Loop: Header=BB1_6 Depth=2
	ds_read_b32 v7, v12 offset:4
	v_add_u32_e32 v6, 1, v6
	s_waitcnt lgkmcnt(0)
	global_store_dword v[24:25], v7, off offset:12
	v_mov_b32_e32 v7, v42
.LBB1_285:                              ;   in Loop: Header=BB1_6 Depth=2
	s_or_b64 exec, exec, s[0:1]
	s_mov_b64 s[36:37], exec
                                        ; implicit-def: $vgpr10
	s_or_saveexec_b64 s[0:1], s[30:31]
	s_mov_b64 s[30:31], s[26:27]
	s_xor_b64 exec, exec, s[0:1]
	s_cbranch_execnz .LBB1_322
.LBB1_286:                              ;   in Loop: Header=BB1_6 Depth=2
	s_or_b64 exec, exec, s[0:1]
	v_bfrev_b32_e32 v12, 8
	s_and_saveexec_b64 s[34:35], s[36:37]
	s_cbranch_execnz .LBB1_325
	s_branch .LBB1_342
.LBB1_287:                              ;   in Loop: Header=BB1_6 Depth=2
	s_or_saveexec_b64 s[0:1], s[4:5]
	s_mov_b64 s[4:5], s[28:29]
	s_xor_b64 exec, exec, s[0:1]
	s_cbranch_execz .LBB1_259
.LBB1_288:                              ;   in Loop: Header=BB1_6 Depth=2
	s_mov_b64 s[4:5], -1
	s_mov_b64 s[30:31], s[34:35]
                                        ; implicit-def: $vgpr10
	s_and_saveexec_b64 s[36:37], vcc
	s_cbranch_execz .LBB1_290
; %bb.289:                              ;   in Loop: Header=BB1_6 Depth=2
	v_lshlrev_b32_e32 v6, 2, v7
	scratch_load_dword v6, v6, off offset:284
	v_add_u32_e32 v10, 1, v7
	s_xor_b64 s[4:5], exec, -1
	s_or_b64 s[30:31], s[34:35], exec
	s_waitcnt vmcnt(0)
	global_store_dword v[24:25], v6, off offset:12
.LBB1_290:                              ;   in Loop: Header=BB1_6 Depth=2
	s_or_b64 exec, exec, s[36:37]
	s_andn2_b64 s[36:37], s[28:29], exec
	s_and_b64 s[4:5], s[4:5], exec
	s_andn2_b64 s[34:35], s[34:35], exec
	s_and_b64 s[30:31], s[30:31], exec
	s_or_b64 s[4:5], s[36:37], s[4:5]
	s_or_b64 s[34:35], s[34:35], s[30:31]
	v_mov_b32_e32 v6, v42
	s_or_b64 exec, exec, s[0:1]
	v_bfrev_b32_e32 v11, 8
	s_and_saveexec_b64 s[30:31], s[34:35]
	s_cbranch_execz .LBB1_352
.LBB1_291:                              ;   in Loop: Header=BB1_6 Depth=2
	v_cmp_ne_u32_e64 s[0:1], v6, v42
	v_cmp_ne_u32_e32 vcc, v10, v41
	s_mov_b64 s[36:37], 0
                                        ; implicit-def: $vgpr7
	s_and_saveexec_b64 s[34:35], s[0:1]
	s_xor_b64 s[34:35], exec, s[34:35]
	s_cbranch_execz .LBB1_344
; %bb.292:                              ;   in Loop: Header=BB1_6 Depth=2
	v_lshlrev_b32_e32 v12, 2, v6
                                        ; implicit-def: $vgpr7
	s_and_saveexec_b64 s[0:1], vcc
	s_xor_b64 s[36:37], exec, s[0:1]
	s_cbranch_execz .LBB1_302
; %bb.293:                              ;   in Loop: Header=BB1_6 Depth=2
	v_lshlrev_b32_e32 v7, 2, v10
	scratch_load_dword v11, v7, off offset:284
	s_nop 0
	scratch_load_dword v12, v12, off offset:312
                                        ; implicit-def: $vgpr7
	s_waitcnt vmcnt(0)
	v_cmp_ge_i32_e64 s[0:1], v11, v12
	s_and_saveexec_b64 s[38:39], s[0:1]
	s_xor_b64 s[38:39], exec, s[38:39]
	s_cbranch_execz .LBB1_299
; %bb.294:                              ;   in Loop: Header=BB1_6 Depth=2
	v_cmp_le_i32_e64 s[0:1], v11, v12
                                        ; implicit-def: $vgpr7
	s_and_saveexec_b64 s[40:41], s[0:1]
	s_xor_b64 s[0:1], exec, s[40:41]
	s_cbranch_execz .LBB1_296
; %bb.295:                              ;   in Loop: Header=BB1_6 Depth=2
	v_add_u32_e32 v7, 1, v10
	v_add_u32_e32 v6, 1, v6
	global_store_dword v[24:25], v11, off offset:16
                                        ; implicit-def: $vgpr12
                                        ; implicit-def: $vgpr10
.LBB1_296:                              ;   in Loop: Header=BB1_6 Depth=2
	s_andn2_saveexec_b64 s[0:1], s[0:1]
	s_cbranch_execz .LBB1_298
; %bb.297:                              ;   in Loop: Header=BB1_6 Depth=2
	v_add_u32_e32 v6, 1, v6
	v_mov_b32_e32 v7, v10
	global_store_dword v[24:25], v12, off offset:16
.LBB1_298:                              ;   in Loop: Header=BB1_6 Depth=2
	s_or_b64 exec, exec, s[0:1]
                                        ; implicit-def: $vgpr10
                                        ; implicit-def: $vgpr11
.LBB1_299:                              ;   in Loop: Header=BB1_6 Depth=2
	s_andn2_saveexec_b64 s[0:1], s[38:39]
	s_cbranch_execz .LBB1_301
; %bb.300:                              ;   in Loop: Header=BB1_6 Depth=2
	v_add_u32_e32 v7, 1, v10
	global_store_dword v[24:25], v11, off offset:16
.LBB1_301:                              ;   in Loop: Header=BB1_6 Depth=2
	s_or_b64 exec, exec, s[0:1]
                                        ; implicit-def: $vgpr12
.LBB1_302:                              ;   in Loop: Header=BB1_6 Depth=2
	s_andn2_saveexec_b64 s[0:1], s[36:37]
	s_cbranch_execz .LBB1_304
; %bb.303:                              ;   in Loop: Header=BB1_6 Depth=2
	scratch_load_dword v7, v12, off offset:312
	v_add_u32_e32 v6, 1, v6
	s_waitcnt vmcnt(0)
	global_store_dword v[24:25], v7, off offset:16
	v_mov_b32_e32 v7, v41
.LBB1_304:                              ;   in Loop: Header=BB1_6 Depth=2
	s_or_b64 exec, exec, s[0:1]
	s_mov_b64 s[36:37], exec
                                        ; implicit-def: $vgpr10
	s_or_saveexec_b64 s[0:1], s[34:35]
	s_mov_b64 s[34:35], s[4:5]
	s_xor_b64 exec, exec, s[0:1]
	s_cbranch_execnz .LBB1_345
.LBB1_305:                              ;   in Loop: Header=BB1_6 Depth=2
	s_or_b64 exec, exec, s[0:1]
	v_bfrev_b32_e32 v11, 24
	s_and_saveexec_b64 s[38:39], s[36:37]
	s_cbranch_execnz .LBB1_348
	s_branch .LBB1_351
.LBB1_306:                              ;   in Loop: Header=BB1_6 Depth=2
	s_or_b64 exec, exec, s[28:29]
.LBB1_307:                              ;   in Loop: Header=BB1_6 Depth=2
	s_or_b64 exec, exec, s[26:27]
	s_waitcnt vmcnt(7)
	v_cmp_ne_u32_e64 s[0:1], 0, v45
	v_and_b32_e32 v6, 8, v0
	s_nop 0
	v_cndmask_b32_e64 v4, 0, -1, s[0:1]
	v_xor_b32_e32 v5, v29, v4
	v_add_u32_e32 v4, -1, v42
	v_cmp_ne_u32_e64 s[0:1], 0, v6
	s_and_saveexec_b64 s[2:3], s[0:1]
	s_cbranch_execz .LBB1_355
; %bb.308:                              ;   in Loop: Header=BB1_6 Depth=2
	v_cmp_gt_u32_e64 s[0:1], 4, v42
	s_and_saveexec_b64 s[26:27], s[0:1]
	s_cbranch_execz .LBB1_354
; %bb.309:                              ;   in Loop: Header=BB1_6 Depth=2
	s_mov_b64 s[28:29], 0
	s_branch .LBB1_312
.LBB1_310:                              ;   in Loop: Header=BB1_312 Depth=3
	s_or_b64 exec, exec, s[34:35]
.LBB1_311:                              ;   in Loop: Header=BB1_312 Depth=3
	s_or_b64 exec, exec, s[30:31]
	v_add_u32_e32 v4, 1, v4
	v_cmp_lt_u32_e64 s[0:1], 2, v4
	s_or_b64 s[28:29], s[0:1], s[28:29]
	s_andn2_b64 exec, exec, s[28:29]
	s_cbranch_execz .LBB1_353
.LBB1_312:                              ;   Parent Loop BB1_3 Depth=1
                                        ;     Parent Loop BB1_6 Depth=2
                                        ; =>    This Inner Loop Header: Depth=3
	v_cmp_lt_i32_e64 s[0:1], 0, v4
	v_mov_b32_e32 v6, v5
	s_and_saveexec_b64 s[30:31], s[0:1]
	s_xor_b64 s[30:31], exec, s[30:31]
	s_cbranch_execz .LBB1_318
; %bb.313:                              ;   in Loop: Header=BB1_312 Depth=3
	v_cmp_lt_i32_e64 s[0:1], 1, v4
	s_and_saveexec_b64 s[34:35], s[0:1]
	s_xor_b64 s[0:1], exec, s[34:35]
; %bb.314:                              ;   in Loop: Header=BB1_312 Depth=3
	v_and_b32_e32 v6, 0xf00ff00f, v5
	v_lshlrev_b32_e32 v7, 4, v5
	v_lshrrev_b32_e32 v5, 4, v5
	v_and_b32_e32 v7, 0xf000f00, v7
	v_and_b32_e32 v5, 0xf000f0, v5
	v_or3_b32 v5, v7, v6, v5
; %bb.315:                              ;   in Loop: Header=BB1_312 Depth=3
	s_andn2_saveexec_b64 s[0:1], s[0:1]
; %bb.316:                              ;   in Loop: Header=BB1_312 Depth=3
	v_and_b32_e32 v6, 0xc3c3c3c3, v5
	v_lshlrev_b32_e32 v7, 2, v5
	v_lshrrev_b32_e32 v5, 2, v5
	v_and_b32_e32 v7, 0x30303030, v7
	v_and_b32_e32 v5, 0xc0c0c0c, v5
	v_or3_b32 v5, v7, v6, v5
; %bb.317:                              ;   in Loop: Header=BB1_312 Depth=3
	s_or_b64 exec, exec, s[0:1]
                                        ; implicit-def: $vgpr6
.LBB1_318:                              ;   in Loop: Header=BB1_312 Depth=3
	s_andn2_saveexec_b64 s[30:31], s[30:31]
	s_cbranch_execz .LBB1_311
; %bb.319:                              ;   in Loop: Header=BB1_312 Depth=3
	v_mov_b32_e32 v5, 0
	v_cmp_eq_u32_e64 s[0:1], 0, v4
	s_and_saveexec_b64 s[34:35], s[0:1]
	s_cbranch_execz .LBB1_310
; %bb.320:                              ;   in Loop: Header=BB1_312 Depth=3
	v_and_b32_e32 v5, 0x99999999, v6
	v_lshlrev_b32_e32 v7, 1, v6
	v_lshrrev_b32_e32 v6, 1, v6
	v_and_b32_e32 v7, 0x44444444, v7
	v_and_b32_e32 v6, 0x22222222, v6
	v_or3_b32 v5, v7, v5, v6
	s_branch .LBB1_310
.LBB1_321:                              ;   in Loop: Header=BB1_6 Depth=2
	s_or_saveexec_b64 s[0:1], s[30:31]
	s_mov_b64 s[30:31], s[26:27]
	s_xor_b64 exec, exec, s[0:1]
	s_cbranch_execz .LBB1_286
.LBB1_322:                              ;   in Loop: Header=BB1_6 Depth=2
	s_mov_b64 s[30:31], -1
	s_mov_b64 s[34:35], s[36:37]
                                        ; implicit-def: $vgpr7
	s_and_saveexec_b64 s[38:39], vcc
	s_cbranch_execz .LBB1_324
; %bb.323:                              ;   in Loop: Header=BB1_6 Depth=2
	v_lshl_add_u32 v6, v10, 2, v33
	ds_read_b32 v6, v6 offset:4
	v_add_u32_e32 v7, 1, v10
	s_xor_b64 s[30:31], exec, -1
	s_or_b64 s[34:35], s[36:37], exec
	s_waitcnt lgkmcnt(0)
	global_store_dword v[24:25], v6, off offset:12
.LBB1_324:                              ;   in Loop: Header=BB1_6 Depth=2
	s_or_b64 exec, exec, s[38:39]
	s_andn2_b64 s[38:39], s[26:27], exec
	s_and_b64 s[30:31], s[30:31], exec
	s_andn2_b64 s[36:37], s[36:37], exec
	s_and_b64 s[34:35], s[34:35], exec
	s_or_b64 s[30:31], s[38:39], s[30:31]
	s_or_b64 s[36:37], s[36:37], s[34:35]
	v_mov_b32_e32 v6, v41
	s_or_b64 exec, exec, s[0:1]
	v_bfrev_b32_e32 v12, 8
	s_and_saveexec_b64 s[34:35], s[36:37]
	s_cbranch_execz .LBB1_342
.LBB1_325:                              ;   in Loop: Header=BB1_6 Depth=2
	v_cmp_ne_u32_e64 s[0:1], v6, v41
	v_cmp_ne_u32_e32 vcc, v7, v42
	s_mov_b64 s[38:39], 0
                                        ; implicit-def: $vgpr10
	s_and_saveexec_b64 s[36:37], s[0:1]
	s_xor_b64 s[36:37], exec, s[36:37]
	s_cbranch_execz .LBB1_365
; %bb.326:                              ;   in Loop: Header=BB1_6 Depth=2
	v_lshl_add_u32 v12, v6, 2, v34
                                        ; implicit-def: $vgpr10
	s_and_saveexec_b64 s[0:1], vcc
	s_xor_b64 s[38:39], exec, s[0:1]
	s_cbranch_execz .LBB1_336
; %bb.327:                              ;   in Loop: Header=BB1_6 Depth=2
	v_lshl_add_u32 v10, v7, 2, v33
	ds_read_b32 v11, v10 offset:4
	ds_read_b32 v12, v12 offset:4
                                        ; implicit-def: $vgpr10
	s_waitcnt lgkmcnt(0)
	v_cmp_ge_i32_e64 s[0:1], v11, v12
	s_and_saveexec_b64 s[40:41], s[0:1]
	s_xor_b64 s[40:41], exec, s[40:41]
	s_cbranch_execz .LBB1_333
; %bb.328:                              ;   in Loop: Header=BB1_6 Depth=2
	v_cmp_le_i32_e64 s[0:1], v11, v12
                                        ; implicit-def: $vgpr10
	s_and_saveexec_b64 s[42:43], s[0:1]
	s_xor_b64 s[0:1], exec, s[42:43]
	s_cbranch_execz .LBB1_330
; %bb.329:                              ;   in Loop: Header=BB1_6 Depth=2
	v_add_u32_e32 v10, 1, v7
	v_add_u32_e32 v6, 1, v6
	global_store_dword v[24:25], v11, off offset:16
                                        ; implicit-def: $vgpr12
                                        ; implicit-def: $vgpr7
.LBB1_330:                              ;   in Loop: Header=BB1_6 Depth=2
	s_andn2_saveexec_b64 s[0:1], s[0:1]
	s_cbranch_execz .LBB1_332
; %bb.331:                              ;   in Loop: Header=BB1_6 Depth=2
	v_add_u32_e32 v6, 1, v6
	v_mov_b32_e32 v10, v7
	global_store_dword v[24:25], v12, off offset:16
.LBB1_332:                              ;   in Loop: Header=BB1_6 Depth=2
	s_or_b64 exec, exec, s[0:1]
                                        ; implicit-def: $vgpr7
                                        ; implicit-def: $vgpr11
.LBB1_333:                              ;   in Loop: Header=BB1_6 Depth=2
	s_andn2_saveexec_b64 s[0:1], s[40:41]
	s_cbranch_execz .LBB1_335
; %bb.334:                              ;   in Loop: Header=BB1_6 Depth=2
	v_add_u32_e32 v10, 1, v7
	global_store_dword v[24:25], v11, off offset:16
.LBB1_335:                              ;   in Loop: Header=BB1_6 Depth=2
	s_or_b64 exec, exec, s[0:1]
                                        ; implicit-def: $vgpr12
.LBB1_336:                              ;   in Loop: Header=BB1_6 Depth=2
	s_andn2_saveexec_b64 s[0:1], s[38:39]
	s_cbranch_execz .LBB1_338
; %bb.337:                              ;   in Loop: Header=BB1_6 Depth=2
	ds_read_b32 v7, v12 offset:4
	v_add_u32_e32 v6, 1, v6
	v_mov_b32_e32 v10, v42
	s_waitcnt lgkmcnt(0)
	global_store_dword v[24:25], v7, off offset:16
.LBB1_338:                              ;   in Loop: Header=BB1_6 Depth=2
	s_or_b64 exec, exec, s[0:1]
	s_mov_b64 s[38:39], exec
                                        ; implicit-def: $vgpr7
	s_or_saveexec_b64 s[0:1], s[36:37]
	s_mov_b64 s[36:37], s[30:31]
	s_xor_b64 exec, exec, s[0:1]
	s_cbranch_execnz .LBB1_366
.LBB1_339:                              ;   in Loop: Header=BB1_6 Depth=2
	s_or_b64 exec, exec, s[0:1]
	v_bfrev_b32_e32 v12, 24
	s_and_saveexec_b64 s[40:41], s[38:39]
.LBB1_340:                              ;   in Loop: Header=BB1_6 Depth=2
	v_cmp_ge_u32_e32 vcc, v10, v42
	v_cmp_ge_u32_e64 s[0:1], v6, v41
	s_and_b64 s[0:1], vcc, s[0:1]
	s_andn2_b64 s[36:37], s[36:37], exec
	s_and_b64 s[0:1], s[0:1], exec
	v_bfrev_b32_e32 v12, 4
	s_or_b64 s[36:37], s[36:37], s[0:1]
.LBB1_341:                              ;   in Loop: Header=BB1_6 Depth=2
	s_or_b64 exec, exec, s[40:41]
	s_andn2_b64 s[0:1], s[30:31], exec
	s_and_b64 s[30:31], s[36:37], exec
	s_or_b64 s[30:31], s[0:1], s[30:31]
.LBB1_342:                              ;   in Loop: Header=BB1_6 Depth=2
	s_or_b64 exec, exec, s[34:35]
	s_andn2_b64 s[0:1], s[26:27], exec
	s_and_b64 s[26:27], s[30:31], exec
	s_or_b64 s[26:27], s[0:1], s[26:27]
.LBB1_343:                              ;   in Loop: Header=BB1_6 Depth=2
	s_or_b64 exec, exec, s[28:29]
	s_andn2_b64 s[0:1], s[4:5], exec
	s_and_b64 s[4:5], s[26:27], exec
	s_or_b64 s[4:5], s[0:1], s[4:5]
	s_or_b64 exec, exec, s[24:25]
	s_mov_b64 s[0:1], 0
                                        ; implicit-def: $vgpr43
	s_and_saveexec_b64 s[24:25], s[4:5]
	s_cbranch_execz .LBB1_162
	s_branch .LBB1_161
.LBB1_344:                              ;   in Loop: Header=BB1_6 Depth=2
	s_or_saveexec_b64 s[0:1], s[34:35]
	s_mov_b64 s[34:35], s[4:5]
	s_xor_b64 exec, exec, s[0:1]
	s_cbranch_execz .LBB1_305
.LBB1_345:                              ;   in Loop: Header=BB1_6 Depth=2
	s_mov_b64 s[34:35], -1
	s_mov_b64 s[38:39], s[36:37]
                                        ; implicit-def: $vgpr7
	s_and_saveexec_b64 s[40:41], vcc
	s_cbranch_execz .LBB1_347
; %bb.346:                              ;   in Loop: Header=BB1_6 Depth=2
	v_lshlrev_b32_e32 v6, 2, v10
	scratch_load_dword v6, v6, off offset:284
	v_add_u32_e32 v7, 1, v10
	s_xor_b64 s[34:35], exec, -1
	s_or_b64 s[38:39], s[36:37], exec
	s_waitcnt vmcnt(0)
	global_store_dword v[24:25], v6, off offset:16
.LBB1_347:                              ;   in Loop: Header=BB1_6 Depth=2
	s_or_b64 exec, exec, s[40:41]
	s_andn2_b64 s[40:41], s[4:5], exec
	s_and_b64 s[34:35], s[34:35], exec
	s_andn2_b64 s[36:37], s[36:37], exec
	s_and_b64 s[38:39], s[38:39], exec
	s_or_b64 s[34:35], s[40:41], s[34:35]
	s_or_b64 s[36:37], s[36:37], s[38:39]
	v_mov_b32_e32 v6, v42
	s_or_b64 exec, exec, s[0:1]
	v_bfrev_b32_e32 v11, 24
	s_and_saveexec_b64 s[38:39], s[36:37]
	s_cbranch_execz .LBB1_351
.LBB1_348:                              ;   in Loop: Header=BB1_6 Depth=2
	v_cmp_lt_u32_e32 vcc, v7, v41
	v_cmp_lt_u32_e64 s[0:1], v6, v42
	s_or_b64 s[40:41], vcc, s[0:1]
	s_mov_b64 s[0:1], -1
	s_and_saveexec_b64 s[36:37], s[40:41]
; %bb.349:                              ;   in Loop: Header=BB1_6 Depth=2
	s_xor_b64 s[0:1], exec, -1
; %bb.350:                              ;   in Loop: Header=BB1_6 Depth=2
	s_or_b64 exec, exec, s[36:37]
	s_andn2_b64 s[34:35], s[34:35], exec
	s_and_b64 s[0:1], s[0:1], exec
	v_bfrev_b32_e32 v11, 4
	s_or_b64 s[34:35], s[34:35], s[0:1]
.LBB1_351:                              ;   in Loop: Header=BB1_6 Depth=2
	s_or_b64 exec, exec, s[38:39]
	s_andn2_b64 s[0:1], s[4:5], exec
	s_and_b64 s[4:5], s[34:35], exec
	s_or_b64 s[4:5], s[0:1], s[4:5]
.LBB1_352:                              ;   in Loop: Header=BB1_6 Depth=2
	s_or_b64 exec, exec, s[30:31]
	s_andn2_b64 s[0:1], s[28:29], exec
	s_and_b64 s[4:5], s[4:5], exec
	s_or_b64 s[28:29], s[0:1], s[4:5]
	s_or_b64 exec, exec, s[2:3]
	s_mov_b64 s[0:1], s[24:25]
                                        ; implicit-def: $vgpr43
	s_and_saveexec_b64 s[2:3], s[28:29]
	s_cbranch_execz .LBB1_182
	s_branch .LBB1_181
.LBB1_353:                              ;   in Loop: Header=BB1_6 Depth=2
	s_or_b64 exec, exec, s[28:29]
.LBB1_354:                              ;   in Loop: Header=BB1_6 Depth=2
	s_or_b64 exec, exec, s[26:27]
	v_add_u32_e32 v4, -2, v42
.LBB1_355:                              ;   in Loop: Header=BB1_6 Depth=2
	s_or_b64 exec, exec, s[2:3]
	v_and_b32_e32 v6, 4, v0
	v_cmp_ne_u32_e64 s[0:1], 0, v6
	s_and_saveexec_b64 s[2:3], s[0:1]
	s_cbranch_execz .LBB1_371
; %bb.356:                              ;   in Loop: Header=BB1_6 Depth=2
	v_cmp_gt_i32_e64 s[0:1], 2, v4
	s_and_saveexec_b64 s[26:27], s[0:1]
	s_cbranch_execz .LBB1_370
; %bb.357:                              ;   in Loop: Header=BB1_6 Depth=2
	s_mov_b64 s[28:29], 0
	v_mov_b32_e32 v6, v4
	s_branch .LBB1_360
.LBB1_358:                              ;   in Loop: Header=BB1_360 Depth=3
	s_or_b64 exec, exec, s[34:35]
.LBB1_359:                              ;   in Loop: Header=BB1_360 Depth=3
	s_or_b64 exec, exec, s[30:31]
	v_add_u32_e32 v7, 1, v6
	v_cmp_lt_i32_e64 s[0:1], 0, v6
	s_or_b64 s[28:29], s[0:1], s[28:29]
	v_mov_b32_e32 v6, v7
	s_andn2_b64 exec, exec, s[28:29]
	s_cbranch_execz .LBB1_369
.LBB1_360:                              ;   Parent Loop BB1_3 Depth=1
                                        ;     Parent Loop BB1_6 Depth=2
                                        ; =>    This Inner Loop Header: Depth=3
	v_cmp_lt_i32_e64 s[0:1], 0, v6
	v_mov_b32_e32 v7, v5
	s_and_saveexec_b64 s[30:31], s[0:1]
	s_xor_b64 s[0:1], exec, s[30:31]
; %bb.361:                              ;   in Loop: Header=BB1_360 Depth=3
	v_and_b32_e32 v7, 0xc3c3c3c3, v5
	v_lshlrev_b32_e32 v8, 2, v5
	v_lshrrev_b32_e32 v5, 2, v5
	v_and_b32_e32 v8, 0x30303030, v8
	v_and_b32_e32 v5, 0xc0c0c0c, v5
	v_or3_b32 v5, v8, v7, v5
                                        ; implicit-def: $vgpr7
; %bb.362:                              ;   in Loop: Header=BB1_360 Depth=3
	s_andn2_saveexec_b64 s[30:31], s[0:1]
	s_cbranch_execz .LBB1_359
; %bb.363:                              ;   in Loop: Header=BB1_360 Depth=3
	v_mov_b32_e32 v5, 0
	v_cmp_eq_u32_e64 s[0:1], 0, v6
	s_and_saveexec_b64 s[34:35], s[0:1]
	s_cbranch_execz .LBB1_358
; %bb.364:                              ;   in Loop: Header=BB1_360 Depth=3
	v_and_b32_e32 v5, 0x99999999, v7
	v_lshlrev_b32_e32 v8, 1, v7
	v_lshrrev_b32_e32 v7, 1, v7
	v_and_b32_e32 v8, 0x44444444, v8
	v_and_b32_e32 v7, 0x22222222, v7
	v_or3_b32 v5, v8, v5, v7
	s_branch .LBB1_358
.LBB1_365:                              ;   in Loop: Header=BB1_6 Depth=2
	s_or_saveexec_b64 s[0:1], s[36:37]
	s_mov_b64 s[36:37], s[30:31]
	s_xor_b64 exec, exec, s[0:1]
	s_cbranch_execz .LBB1_339
.LBB1_366:                              ;   in Loop: Header=BB1_6 Depth=2
	s_mov_b64 s[36:37], -1
	s_mov_b64 s[40:41], s[38:39]
                                        ; implicit-def: $vgpr10
	s_and_saveexec_b64 s[42:43], vcc
	s_cbranch_execz .LBB1_368
; %bb.367:                              ;   in Loop: Header=BB1_6 Depth=2
	v_lshl_add_u32 v6, v7, 2, v33
	ds_read_b32 v6, v6 offset:4
	v_add_u32_e32 v10, 1, v7
	s_xor_b64 s[36:37], exec, -1
	s_or_b64 s[40:41], s[38:39], exec
	s_waitcnt lgkmcnt(0)
	global_store_dword v[24:25], v6, off offset:16
.LBB1_368:                              ;   in Loop: Header=BB1_6 Depth=2
	s_or_b64 exec, exec, s[42:43]
	s_andn2_b64 s[42:43], s[30:31], exec
	s_and_b64 s[36:37], s[36:37], exec
	s_andn2_b64 s[38:39], s[38:39], exec
	s_and_b64 s[40:41], s[40:41], exec
	s_or_b64 s[36:37], s[42:43], s[36:37]
	s_or_b64 s[38:39], s[38:39], s[40:41]
	v_mov_b32_e32 v6, v41
	s_or_b64 exec, exec, s[0:1]
	v_bfrev_b32_e32 v12, 24
	s_and_saveexec_b64 s[40:41], s[38:39]
	s_cbranch_execnz .LBB1_340
	s_branch .LBB1_341
.LBB1_369:                              ;   in Loop: Header=BB1_6 Depth=2
	s_or_b64 exec, exec, s[28:29]
.LBB1_370:                              ;   in Loop: Header=BB1_6 Depth=2
	s_or_b64 exec, exec, s[26:27]
	v_add_u32_e32 v4, -1, v4
.LBB1_371:                              ;   in Loop: Header=BB1_6 Depth=2
	s_or_b64 exec, exec, s[2:3]
	v_and_b32_e32 v6, 2, v0
	v_cmp_ne_u32_e64 s[0:1], 0, v6
	s_and_saveexec_b64 s[2:3], s[0:1]
	s_cbranch_execz .LBB1_375
; %bb.372:                              ;   in Loop: Header=BB1_6 Depth=2
	v_cmp_gt_i32_e64 s[0:1], 1, v4
	s_and_saveexec_b64 s[26:27], s[0:1]
; %bb.373:                              ;   in Loop: Header=BB1_6 Depth=2
	v_cmp_eq_u32_e64 s[0:1], 0, v4
	s_nop 1
	v_cndmask_b32_e64 v5, 0, v5, s[0:1]
	v_and_b32_e32 v6, 0x99999999, v5
	v_lshlrev_b32_e32 v7, 1, v5
	v_lshrrev_b32_e32 v5, 1, v5
	v_and_b32_e32 v7, 0x44444444, v7
	v_and_b32_e32 v5, 0x22222222, v5
	v_or3_b32 v5, v7, v6, v5
; %bb.374:                              ;   in Loop: Header=BB1_6 Depth=2
	s_or_b64 exec, exec, s[26:27]
	v_add_u32_e32 v4, -1, v4
.LBB1_375:                              ;   in Loop: Header=BB1_6 Depth=2
	s_or_b64 exec, exec, s[2:3]
	v_mov_b32_e32 v6, v1
	v_mov_b32_e32 v7, v2
	;; [unrolled: 1-line block ×5, first 2 shown]
	scratch_store_dwordx4 off, v[6:9], off offset:116
	scratch_store_dword off, v27, off offset:132
	scratch_store_byte off, v30, off offset:136
	scratch_store_dwordx4 off, v[10:13], off offset:144
	scratch_store_dword off, v43, off offset:160
	scratch_store_byte off, v44, off offset:164
	s_and_saveexec_b64 s[26:27], vcc
	s_cbranch_execz .LBB1_383
; %bb.376:                              ;   in Loop: Header=BB1_6 Depth=2
	s_mov_b32 s36, 0
	v_cmp_ne_u32_e64 s[0:1], 0, v41
	s_mov_b64 s[28:29], 0
	v_mov_b32_e32 v1, 0
	s_branch .LBB1_378
.LBB1_377:                              ;   in Loop: Header=BB1_378 Depth=3
	s_or_b64 exec, exec, s[30:31]
	s_add_i32 s36, s36, 1
	v_cmp_eq_u32_e64 s[2:3], s36, v28
	s_or_b64 s[28:29], s[2:3], s[28:29]
	s_andn2_b64 exec, exec, s[28:29]
	s_cbranch_execz .LBB1_382
.LBB1_378:                              ;   Parent Loop BB1_3 Depth=1
                                        ;     Parent Loop BB1_6 Depth=2
                                        ; =>    This Loop Header: Depth=3
                                        ;         Child Loop BB1_380 Depth 4
	s_and_saveexec_b64 s[30:31], s[0:1]
	s_cbranch_execz .LBB1_377
; %bb.379:                              ;   in Loop: Header=BB1_378 Depth=3
	s_lshl_b32 s2, s36, 2
	s_addk_i32 s2, 0x8c
	scratch_load_dword v2, off, s2 offset:4
	s_lshl_b32 s37, 1, s36
	s_mov_b64 s[34:35], 0
	v_mov_b32_e32 v3, v41
	s_mov_b32 s38, s61
.LBB1_380:                              ;   Parent Loop BB1_3 Depth=1
                                        ;     Parent Loop BB1_6 Depth=2
                                        ;       Parent Loop BB1_378 Depth=3
                                        ; =>      This Inner Loop Header: Depth=4
	scratch_load_dword v6, off, s38
	v_add_u32_e32 v3, -1, v3
	s_add_i32 s38, s38, 4
	v_cmp_eq_u32_e64 s[2:3], 0, v3
	v_mov_b32_e32 v7, s37
	s_or_b64 s[34:35], s[2:3], s[34:35]
	s_waitcnt vmcnt(0)
	v_cmp_eq_u32_e64 s[2:3], v6, v2
	s_nop 1
	v_cndmask_b32_e64 v6, 0, v7, s[2:3]
	v_or_b32_e32 v1, v6, v1
	s_andn2_b64 exec, exec, s[34:35]
	s_cbranch_execnz .LBB1_380
; %bb.381:                              ;   in Loop: Header=BB1_378 Depth=3
	s_or_b64 exec, exec, s[34:35]
	s_branch .LBB1_377
.LBB1_382:                              ;   in Loop: Header=BB1_6 Depth=2
	s_or_b64 exec, exec, s[28:29]
.LBB1_383:                              ;   in Loop: Header=BB1_6 Depth=2
	s_or_b64 exec, exec, s[26:27]
	s_waitcnt vmcnt(12)
	v_cmp_ne_u32_e64 s[0:1], 0, v40
	v_and_b32_e32 v6, 8, v1
	s_nop 0
	v_cndmask_b32_e64 v2, 0, -1, s[0:1]
	v_xor_b32_e32 v3, v27, v2
	v_add_u32_e32 v2, -1, v41
	v_cmp_ne_u32_e64 s[0:1], 0, v6
	s_and_saveexec_b64 s[2:3], s[0:1]
	s_cbranch_execz .LBB1_399
; %bb.384:                              ;   in Loop: Header=BB1_6 Depth=2
	v_cmp_gt_u32_e64 s[0:1], 4, v41
	s_and_saveexec_b64 s[26:27], s[0:1]
	s_cbranch_execz .LBB1_398
; %bb.385:                              ;   in Loop: Header=BB1_6 Depth=2
	s_mov_b64 s[28:29], 0
	s_branch .LBB1_388
.LBB1_386:                              ;   in Loop: Header=BB1_388 Depth=3
	s_or_b64 exec, exec, s[34:35]
.LBB1_387:                              ;   in Loop: Header=BB1_388 Depth=3
	s_or_b64 exec, exec, s[30:31]
	v_add_u32_e32 v2, 1, v2
	v_cmp_lt_u32_e64 s[0:1], 2, v2
	s_or_b64 s[28:29], s[0:1], s[28:29]
	s_andn2_b64 exec, exec, s[28:29]
	s_cbranch_execz .LBB1_397
.LBB1_388:                              ;   Parent Loop BB1_3 Depth=1
                                        ;     Parent Loop BB1_6 Depth=2
                                        ; =>    This Inner Loop Header: Depth=3
	v_cmp_lt_i32_e64 s[0:1], 0, v2
	v_mov_b32_e32 v6, v3
	s_and_saveexec_b64 s[30:31], s[0:1]
	s_xor_b64 s[30:31], exec, s[30:31]
	s_cbranch_execz .LBB1_394
; %bb.389:                              ;   in Loop: Header=BB1_388 Depth=3
	v_cmp_lt_i32_e64 s[0:1], 1, v2
	s_and_saveexec_b64 s[34:35], s[0:1]
	s_xor_b64 s[0:1], exec, s[34:35]
; %bb.390:                              ;   in Loop: Header=BB1_388 Depth=3
	v_and_b32_e32 v6, 0xf00ff00f, v3
	v_lshlrev_b32_e32 v7, 4, v3
	v_lshrrev_b32_e32 v3, 4, v3
	v_and_b32_e32 v7, 0xf000f00, v7
	v_and_b32_e32 v3, 0xf000f0, v3
	v_or3_b32 v3, v7, v6, v3
; %bb.391:                              ;   in Loop: Header=BB1_388 Depth=3
	s_andn2_saveexec_b64 s[0:1], s[0:1]
; %bb.392:                              ;   in Loop: Header=BB1_388 Depth=3
	v_and_b32_e32 v6, 0xc3c3c3c3, v3
	v_lshlrev_b32_e32 v7, 2, v3
	v_lshrrev_b32_e32 v3, 2, v3
	v_and_b32_e32 v7, 0x30303030, v7
	v_and_b32_e32 v3, 0xc0c0c0c, v3
	v_or3_b32 v3, v7, v6, v3
; %bb.393:                              ;   in Loop: Header=BB1_388 Depth=3
	s_or_b64 exec, exec, s[0:1]
                                        ; implicit-def: $vgpr6
.LBB1_394:                              ;   in Loop: Header=BB1_388 Depth=3
	s_andn2_saveexec_b64 s[30:31], s[30:31]
	s_cbranch_execz .LBB1_387
; %bb.395:                              ;   in Loop: Header=BB1_388 Depth=3
	v_mov_b32_e32 v3, 0
	v_cmp_eq_u32_e64 s[0:1], 0, v2
	s_and_saveexec_b64 s[34:35], s[0:1]
	s_cbranch_execz .LBB1_386
; %bb.396:                              ;   in Loop: Header=BB1_388 Depth=3
	v_and_b32_e32 v3, 0x99999999, v6
	v_lshlrev_b32_e32 v7, 1, v6
	v_lshrrev_b32_e32 v6, 1, v6
	v_and_b32_e32 v7, 0x44444444, v7
	v_and_b32_e32 v6, 0x22222222, v6
	v_or3_b32 v3, v7, v3, v6
	s_branch .LBB1_386
.LBB1_397:                              ;   in Loop: Header=BB1_6 Depth=2
	s_or_b64 exec, exec, s[28:29]
.LBB1_398:                              ;   in Loop: Header=BB1_6 Depth=2
	s_or_b64 exec, exec, s[26:27]
	v_add_u32_e32 v2, -2, v41
.LBB1_399:                              ;   in Loop: Header=BB1_6 Depth=2
	s_or_b64 exec, exec, s[2:3]
	v_and_b32_e32 v6, 4, v1
	v_cmp_ne_u32_e64 s[0:1], 0, v6
	s_and_saveexec_b64 s[2:3], s[0:1]
	s_cbranch_execz .LBB1_411
; %bb.400:                              ;   in Loop: Header=BB1_6 Depth=2
	v_cmp_gt_i32_e64 s[0:1], 2, v2
	s_and_saveexec_b64 s[26:27], s[0:1]
	s_cbranch_execz .LBB1_410
; %bb.401:                              ;   in Loop: Header=BB1_6 Depth=2
	s_mov_b64 s[28:29], 0
	v_mov_b32_e32 v6, v2
	s_branch .LBB1_404
.LBB1_402:                              ;   in Loop: Header=BB1_404 Depth=3
	s_or_b64 exec, exec, s[34:35]
.LBB1_403:                              ;   in Loop: Header=BB1_404 Depth=3
	s_or_b64 exec, exec, s[30:31]
	v_add_u32_e32 v7, 1, v6
	v_cmp_lt_i32_e64 s[0:1], 0, v6
	s_or_b64 s[28:29], s[0:1], s[28:29]
	v_mov_b32_e32 v6, v7
	s_andn2_b64 exec, exec, s[28:29]
	s_cbranch_execz .LBB1_409
.LBB1_404:                              ;   Parent Loop BB1_3 Depth=1
                                        ;     Parent Loop BB1_6 Depth=2
                                        ; =>    This Inner Loop Header: Depth=3
	v_cmp_lt_i32_e64 s[0:1], 0, v6
	v_mov_b32_e32 v7, v3
	s_and_saveexec_b64 s[30:31], s[0:1]
	s_xor_b64 s[0:1], exec, s[30:31]
; %bb.405:                              ;   in Loop: Header=BB1_404 Depth=3
	v_and_b32_e32 v7, 0xc3c3c3c3, v3
	v_lshlrev_b32_e32 v8, 2, v3
	v_lshrrev_b32_e32 v3, 2, v3
	v_and_b32_e32 v8, 0x30303030, v8
	v_and_b32_e32 v3, 0xc0c0c0c, v3
	v_or3_b32 v3, v8, v7, v3
                                        ; implicit-def: $vgpr7
; %bb.406:                              ;   in Loop: Header=BB1_404 Depth=3
	s_andn2_saveexec_b64 s[30:31], s[0:1]
	s_cbranch_execz .LBB1_403
; %bb.407:                              ;   in Loop: Header=BB1_404 Depth=3
	v_mov_b32_e32 v3, 0
	v_cmp_eq_u32_e64 s[0:1], 0, v6
	s_and_saveexec_b64 s[34:35], s[0:1]
	s_cbranch_execz .LBB1_402
; %bb.408:                              ;   in Loop: Header=BB1_404 Depth=3
	v_and_b32_e32 v3, 0x99999999, v7
	v_lshlrev_b32_e32 v8, 1, v7
	v_lshrrev_b32_e32 v7, 1, v7
	v_and_b32_e32 v8, 0x44444444, v8
	v_and_b32_e32 v7, 0x22222222, v7
	v_or3_b32 v3, v8, v3, v7
	s_branch .LBB1_402
.LBB1_409:                              ;   in Loop: Header=BB1_6 Depth=2
	s_or_b64 exec, exec, s[28:29]
.LBB1_410:                              ;   in Loop: Header=BB1_6 Depth=2
	s_or_b64 exec, exec, s[26:27]
	v_add_u32_e32 v2, -1, v2
.LBB1_411:                              ;   in Loop: Header=BB1_6 Depth=2
	s_or_b64 exec, exec, s[2:3]
	v_and_b32_e32 v6, 2, v1
	v_cmp_ne_u32_e64 s[0:1], 0, v6
	s_and_saveexec_b64 s[2:3], s[0:1]
	s_cbranch_execz .LBB1_415
; %bb.412:                              ;   in Loop: Header=BB1_6 Depth=2
	v_cmp_gt_i32_e64 s[0:1], 1, v2
	s_and_saveexec_b64 s[26:27], s[0:1]
; %bb.413:                              ;   in Loop: Header=BB1_6 Depth=2
	v_cmp_eq_u32_e64 s[0:1], 0, v2
	s_nop 1
	v_cndmask_b32_e64 v3, 0, v3, s[0:1]
	v_and_b32_e32 v6, 0x99999999, v3
	v_lshlrev_b32_e32 v7, 1, v3
	v_lshrrev_b32_e32 v3, 1, v3
	v_and_b32_e32 v7, 0x44444444, v7
	v_and_b32_e32 v3, 0x22222222, v3
	v_or3_b32 v3, v7, v6, v3
; %bb.414:                              ;   in Loop: Header=BB1_6 Depth=2
	s_or_b64 exec, exec, s[26:27]
	v_add_u32_e32 v2, -1, v2
.LBB1_415:                              ;   in Loop: Header=BB1_6 Depth=2
	s_or_b64 exec, exec, s[2:3]
	v_and_b32_e32 v0, 1, v0
	v_cmp_eq_u32_e64 s[0:1], 1, v0
	v_cmp_gt_i32_e64 s[2:3], 0, v4
	s_and_b64 s[0:1], s[0:1], s[2:3]
	v_and_b32_e32 v1, 1, v1
	v_cndmask_b32_e64 v0, v5, 0, s[0:1]
	v_cmp_eq_u32_e64 s[0:1], 1, v1
	v_cmp_gt_i32_e64 s[2:3], 0, v2
	s_and_b64 s[0:1], s[0:1], s[2:3]
	v_cndmask_b32_e64 v1, v3, 0, s[0:1]
	v_and_b32_e32 v3, v1, v0
	v_mov_b32_e32 v6, 0
	v_bitop3_b32 v0, v1, s33, v0 bitop3:0x80
	v_bfi_b32 v2, s33, v3, v43
	v_mov_b32_e32 v4, 0
	global_store_dword v[24:25], v2, off offset:20
	s_and_saveexec_b64 s[0:1], vcc
	s_cbranch_execz .LBB1_419
; %bb.416:                              ;   in Loop: Header=BB1_6 Depth=2
	v_mov_b32_e32 v1, v0
	s_mov_b32 s28, 0
	s_mov_b64 s[2:3], 0
	v_mov_b32_e32 v4, 0
	v_mov_b32_e32 v6, v28
	s_getpc_b64 s[26:27]
	s_add_u32 s26, s26, __const._Z18MinimizeCutSupportPN2rw3CutE.masks@rel32@lo+4
	s_addc_u32 s27, s27, __const._Z18MinimizeCutSupportPN2rw3CutE.masks@rel32@hi+12
.LBB1_417:                              ;   Parent Loop BB1_3 Depth=1
                                        ;     Parent Loop BB1_6 Depth=2
                                        ; =>    This Inner Loop Header: Depth=3
	s_load_dwordx2 s[30:31], s[26:27], 0x0
	s_lshl_b32 s29, 1, s28
	s_add_i32 s28, s28, 1
	s_add_u32 s26, s26, 8
	v_cmp_eq_u32_e32 vcc, s28, v28
	s_waitcnt lgkmcnt(0)
	v_and_b32_e32 v7, s31, v1
	s_addc_u32 s27, s27, 0
	v_and_b32_e32 v8, s30, v0
	v_lshrrev_b32_e32 v7, s29, v7
	v_mov_b32_e32 v5, s29
	s_or_b64 s[2:3], vcc, s[2:3]
	v_cmp_eq_u32_e32 vcc, v8, v7
	s_nop 1
	v_cndmask_b32_e64 v5, v5, 0, vcc
	v_or_b32_e32 v4, v5, v4
	v_subbrev_co_u32_e32 v6, vcc, 0, v6, vcc
	s_andn2_b64 exec, exec, s[2:3]
	s_cbranch_execnz .LBB1_417
; %bb.418:                              ;   in Loop: Header=BB1_6 Depth=2
	s_or_b64 exec, exec, s[2:3]
.LBB1_419:                              ;   in Loop: Header=BB1_6 Depth=2
	s_or_b64 exec, exec, s[0:1]
	v_and_b32_e32 v1, 0xffff0000, v43
	v_cmp_ne_u32_e32 vcc, v6, v28
	s_and_saveexec_b64 s[26:27], vcc
	s_cbranch_execz .LBB1_487
; %bb.420:                              ;   in Loop: Header=BB1_6 Depth=2
	v_and_b32_e32 v5, 2, v4
	v_and_b32_e32 v2, 1, v4
	v_cmp_ne_u32_e32 vcc, 0, v5
	s_and_saveexec_b64 s[0:1], vcc
; %bb.421:                              ;   in Loop: Header=BB1_6 Depth=2
	v_lshlrev_b32_e32 v5, 1, v0
	v_and_b32_e32 v7, 0x9999, v3
	v_lshrrev_b32_e32 v3, 1, v3
	v_and_b32_e32 v5, 0x4444, v5
	v_and_b32_e32 v3, 0x2222, v3
	v_or3_b32 v3, v3, v7, v5
	v_cmp_eq_u32_e32 vcc, 0, v2
	v_add_u32_e32 v2, 1, v2
	s_nop 0
	v_cndmask_b32_e32 v0, v0, v3, vcc
; %bb.422:                              ;   in Loop: Header=BB1_6 Depth=2
	s_or_b64 exec, exec, s[0:1]
	v_and_b32_e32 v3, 4, v4
	v_cmp_ne_u32_e32 vcc, 0, v3
	s_and_saveexec_b64 s[0:1], vcc
	s_cbranch_execz .LBB1_426
; %bb.423:                              ;   in Loop: Header=BB1_6 Depth=2
	v_cmp_gt_u32_e32 vcc, 2, v2
	s_and_saveexec_b64 s[2:3], vcc
	s_cbranch_execz .LBB1_425
; %bb.424:                              ;   in Loop: Header=BB1_6 Depth=2
	v_and_b32_e32 v3, 0xc3c3, v0
	v_lshlrev_b32_e32 v5, 2, v0
	v_lshrrev_b32_e32 v0, 2, v0
	v_and_or_b32 v3, v5, s72, v3
	v_and_b32_e32 v0, 0xc0c, v0
	v_or_b32_e32 v5, v3, v0
	v_lshlrev_b32_e32 v7, 1, v3
	v_bitop3_b32 v0, v3, s71, v0 bitop3:0xc8
	v_lshrrev_b32_e32 v3, 1, v5
	v_and_b32_e32 v7, 0x4444, v7
	v_and_b32_e32 v3, 0x2222, v3
	v_or3_b32 v0, v7, v0, v3
	v_cmp_eq_u32_e32 vcc, 0, v2
	s_nop 1
	v_cndmask_b32_e32 v0, v5, v0, vcc
.LBB1_425:                              ;   in Loop: Header=BB1_6 Depth=2
	s_or_b64 exec, exec, s[2:3]
	v_add_u32_e32 v2, 1, v2
.LBB1_426:                              ;   in Loop: Header=BB1_6 Depth=2
	s_or_b64 exec, exec, s[0:1]
	v_and_b32_e32 v3, 8, v4
	v_cmp_ne_u32_e32 vcc, 0, v3
	v_cmp_gt_u32_e64 s[0:1], 3, v2
	s_and_b64 s[2:3], vcc, s[0:1]
	s_and_saveexec_b64 s[0:1], s[2:3]
	s_cbranch_execz .LBB1_437
; %bb.427:                              ;   in Loop: Header=BB1_6 Depth=2
	s_mov_b32 s30, 3
	s_mov_b64 s[2:3], 0
	s_branch .LBB1_430
.LBB1_428:                              ;   in Loop: Header=BB1_430 Depth=3
	s_mov_b32 s29, 0xf000f0
	s_mov_b32 s31, 0xf000f00
	;; [unrolled: 1-line block ×4, first 2 shown]
.LBB1_429:                              ;   in Loop: Header=BB1_430 Depth=3
	s_add_i32 s30, s30, -1
	v_and_b32_e32 v3, s34, v0
	v_lshlrev_b32_e32 v5, s28, v0
	v_lshrrev_b32_e32 v0, s28, v0
	v_and_b32_e32 v5, s31, v5
	v_and_b32_e32 v0, s29, v0
	v_cmp_le_u32_e32 vcc, s30, v2
	s_or_b64 s[2:3], vcc, s[2:3]
	v_or3_b32 v0, v5, v3, v0
	s_andn2_b64 exec, exec, s[2:3]
	s_cbranch_execz .LBB1_436
.LBB1_430:                              ;   Parent Loop BB1_3 Depth=1
                                        ;     Parent Loop BB1_6 Depth=2
                                        ; =>    This Inner Loop Header: Depth=3
	s_cmp_gt_i32 s30, 2
	s_cbranch_scc1 .LBB1_428
; %bb.431:                              ;   in Loop: Header=BB1_430 Depth=3
	s_cmp_lg_u32 s30, 2
	s_mov_b64 s[28:29], -1
	s_cbranch_scc0 .LBB1_433
; %bb.432:                              ;   in Loop: Header=BB1_430 Depth=3
	s_mov_b64 s[28:29], 0
.LBB1_433:                              ;   in Loop: Header=BB1_430 Depth=3
	s_andn2_b64 vcc, exec, s[28:29]
	s_mov_b32 s28, 1
	s_cbranch_vccnz .LBB1_435
; %bb.434:                              ;   in Loop: Header=BB1_430 Depth=3
	s_mov_b32 s34, 0xc3c3c3c3
	s_mov_b32 s28, 2
	s_mov_b32 s31, 0x30303030
	s_mov_b32 s29, 0xc0c0c0c
	s_branch .LBB1_429
.LBB1_435:                              ;   in Loop: Header=BB1_430 Depth=3
	s_mov_b32 s34, 0x99999999
	s_mov_b32 s31, 0x44444444
	;; [unrolled: 1-line block ×3, first 2 shown]
	s_branch .LBB1_429
.LBB1_436:                              ;   in Loop: Header=BB1_6 Depth=2
	s_or_b64 exec, exec, s[2:3]
.LBB1_437:                              ;   in Loop: Header=BB1_6 Depth=2
	s_or_b64 exec, exec, s[0:1]
	v_and_or_b32 v5, v0, s33, v1
	v_and_b32_e32 v0, 0x78000000, v43
	v_mov_b32_e32 v3, 0
	v_cmp_ne_u32_e32 vcc, 0, v0
	global_store_dword v[24:25], v5, off offset:20
	global_store_dword v[24:25], v3, off
	s_and_saveexec_b64 s[0:1], vcc
	s_cbranch_execz .LBB1_443
; %bb.438:                              ;   in Loop: Header=BB1_6 Depth=2
	v_mad_i64_i32 v[0:1], s[2:3], v39, 28, v[20:21]
	v_mov_b32_e32 v3, 0
	s_mov_b64 s[2:3], 0
	s_mov_b32 s30, 0
	v_mov_b32_e32 v2, 0
	s_branch .LBB1_440
.LBB1_439:                              ;   in Loop: Header=BB1_440 Depth=3
	s_or_b64 exec, exec, s[28:29]
	s_add_i32 s30, s30, 1
	s_waitcnt vmcnt(1)
	v_bfe_u32 v7, v5, 27, 4
	v_cmp_ge_u32_e32 vcc, s30, v7
	s_or_b64 s[2:3], vcc, s[2:3]
	v_lshl_add_u64 v[0:1], v[0:1], 0, 4
	s_andn2_b64 exec, exec, s[2:3]
	s_cbranch_execz .LBB1_442
.LBB1_440:                              ;   Parent Loop BB1_3 Depth=1
                                        ;     Parent Loop BB1_6 Depth=2
                                        ; =>    This Inner Loop Header: Depth=3
	v_lshrrev_b32_e32 v7, s30, v4
	v_and_b32_e32 v7, 1, v7
	v_cmp_eq_u32_e32 vcc, 1, v7
	s_and_saveexec_b64 s[28:29], vcc
	s_cbranch_execz .LBB1_439
; %bb.441:                              ;   in Loop: Header=BB1_440 Depth=3
	global_load_dword v7, v[0:1], off
	v_ashrrev_i32_e32 v3, 31, v2
	v_lshl_add_u64 v[8:9], v[2:3], 2, v[24:25]
	v_add_u32_e32 v2, 1, v2
	s_waitcnt vmcnt(0)
	global_store_dword v[8:9], v7, off offset:4
	global_load_dword v3, v[24:25], off
	global_load_dword v5, v[24:25], off offset:20
	s_waitcnt vmcnt(1)
	v_lshl_or_b32 v3, 1, v7, v3
	global_store_dword v[24:25], v3, off
	s_branch .LBB1_439
.LBB1_442:                              ;   in Loop: Header=BB1_6 Depth=2
	s_or_b64 exec, exec, s[2:3]
.LBB1_443:                              ;   in Loop: Header=BB1_6 Depth=2
	s_or_b64 exec, exec, s[0:1]
	v_lshlrev_b32_e32 v0, 27, v6
	v_and_b32_e32 v4, 15, v6
	v_bfi_b32 v2, s70, v5, v0
	s_mov_b32 s75, 0
	v_cmp_ne_u32_e32 vcc, 0, v4
	s_mov_b64 s[28:29], 0
	global_store_dword v[24:25], v2, off offset:20
                                        ; implicit-def: $sgpr30_sgpr31
                                        ; implicit-def: $sgpr34_sgpr35
	s_branch .LBB1_445
.LBB1_444:                              ;   in Loop: Header=BB1_445 Depth=3
	s_or_b64 exec, exec, s[36:37]
	s_and_b64 s[0:1], exec, s[2:3]
	s_or_b64 s[28:29], s[0:1], s[28:29]
	s_andn2_b64 s[0:1], s[30:31], exec
	s_and_b64 s[2:3], s[34:35], exec
	s_or_b64 s[30:31], s[0:1], s[2:3]
	s_andn2_b64 exec, exec, s[28:29]
	s_cbranch_execz .LBB1_484
.LBB1_445:                              ;   Parent Loop BB1_3 Depth=1
                                        ;     Parent Loop BB1_6 Depth=2
                                        ; =>    This Loop Header: Depth=3
                                        ;         Child Loop BB1_453 Depth 4
                                        ;           Child Loop BB1_454 Depth 5
                                        ;         Child Loop BB1_469 Depth 4
                                        ;           Child Loop BB1_470 Depth 5
	v_cmp_eq_u32_e64 s[0:1], s75, v39
	v_cmp_ne_u32_e64 s[2:3], s75, v39
	s_and_saveexec_b64 s[36:37], s[2:3]
	s_cbranch_execz .LBB1_482
; %bb.446:                              ;   in Loop: Header=BB1_445 Depth=3
	v_mad_u64_u32 v[0:1], s[2:3], s75, 28, v[14:15]
	global_load_ubyte v5, v[0:1], off offset:24
	s_mov_b64 s[40:41], -1
	s_waitcnt vmcnt(0)
	v_and_b32_e32 v5, 1, v5
	v_cmp_eq_u32_e64 s[2:3], 1, v5
	s_and_saveexec_b64 s[38:39], s[2:3]
	s_cbranch_execz .LBB1_481
; %bb.447:                              ;   in Loop: Header=BB1_445 Depth=3
	global_load_dword v6, v[0:1], off offset:20
	global_load_dword v8, v[0:1], off
	s_mov_b64 s[40:41], 0
	s_waitcnt vmcnt(1)
	v_bfe_u32 v5, v6, 27, 4
	s_waitcnt vmcnt(0)
	v_and_b32_e32 v7, v3, v8
	v_cmp_le_u32_e64 s[2:3], v5, v4
	s_and_saveexec_b64 s[42:43], s[2:3]
	s_xor_b64 s[42:43], exec, s[42:43]
	s_cbranch_execz .LBB1_463
; %bb.448:                              ;   in Loop: Header=BB1_445 Depth=3
	v_cmp_eq_u32_e64 s[2:3], v7, v8
	s_mov_b64 s[44:45], -1
	s_and_saveexec_b64 s[40:41], s[2:3]
	s_cbranch_execz .LBB1_462
; %bb.449:                              ;   in Loop: Header=BB1_445 Depth=3
	global_load_dwordx4 v[8:11], v[24:25], off
	global_load_dwordx4 v[26:29], v[24:25], off offset:12
	global_load_dwordx4 v[40:43], v[0:1], off offset:4
	v_cmp_ne_u32_e64 s[2:3], 0, v5
	s_mov_b64 s[46:47], 0
	scratch_store_dword off, v6, off offset:20
	scratch_store_byte off, v30, off offset:24
	s_waitcnt vmcnt(4)
	scratch_store_dwordx4 off, v[8:11], off offset:28
	s_waitcnt vmcnt(4)
	scratch_store_dwordx4 off, v[26:29], off offset:40
	;; [unrolled: 2-line block ×3, first 2 shown]
	s_and_saveexec_b64 s[44:45], s[2:3]
	s_cbranch_execz .LBB1_461
; %bb.450:                              ;   in Loop: Header=BB1_445 Depth=3
	scratch_load_dword v0, off, off offset:48
	s_mov_b64 s[48:49], -1
	s_waitcnt vmcnt(0)
	v_bfe_u32 v0, v0, 27, 4
	v_cmp_ne_u32_e64 s[2:3], 0, v0
	s_and_saveexec_b64 s[46:47], s[2:3]
	s_cbranch_execz .LBB1_458
; %bb.451:                              ;   in Loop: Header=BB1_445 Depth=3
	s_mov_b32 s58, 0
	s_mov_b64 s[48:49], 0
                                        ; implicit-def: $sgpr50_sgpr51
                                        ; implicit-def: $sgpr52_sgpr53
	s_branch .LBB1_453
.LBB1_452:                              ;   in Loop: Header=BB1_453 Depth=4
	s_or_b64 exec, exec, s[56:57]
	s_and_b64 s[2:3], exec, s[54:55]
	s_or_b64 s[48:49], s[2:3], s[48:49]
	s_andn2_b64 s[2:3], s[50:51], exec
	s_and_b64 s[50:51], s[52:53], exec
	s_or_b64 s[50:51], s[2:3], s[50:51]
	s_andn2_b64 exec, exec, s[48:49]
	s_cbranch_execz .LBB1_457
.LBB1_453:                              ;   Parent Loop BB1_3 Depth=1
                                        ;     Parent Loop BB1_6 Depth=2
                                        ;       Parent Loop BB1_445 Depth=3
                                        ; =>      This Loop Header: Depth=4
                                        ;           Child Loop BB1_454 Depth 5
	s_lshl_b32 s2, s58, 2
	scratch_load_dword v6, off, s2 offset:4
	v_mov_b32_e32 v1, 0
	s_mov_b64 s[54:55], 0
	v_mov_b32_e32 v7, v0
	s_mov_b32 s56, s64
.LBB1_454:                              ;   Parent Loop BB1_3 Depth=1
                                        ;     Parent Loop BB1_6 Depth=2
                                        ;       Parent Loop BB1_445 Depth=3
                                        ;         Parent Loop BB1_453 Depth=4
                                        ; =>        This Inner Loop Header: Depth=5
	scratch_load_dword v8, off, s56
	v_add_u32_e32 v7, -1, v7
	s_add_i32 s56, s56, 4
	v_cmp_eq_u32_e64 s[2:3], 0, v7
	s_or_b64 s[54:55], s[2:3], s[54:55]
	s_waitcnt vmcnt(0)
	v_cmp_ne_u32_e64 s[2:3], v8, v6
	s_nop 1
	v_cndmask_b32_e64 v1, 1, v1, s[2:3]
	s_andn2_b64 exec, exec, s[54:55]
	s_cbranch_execnz .LBB1_454
; %bb.455:                              ;   in Loop: Header=BB1_453 Depth=4
	s_or_b64 exec, exec, s[54:55]
	v_cmp_ne_u32_e64 s[2:3], 0, v1
	s_mov_b64 s[54:55], -1
	s_or_b64 s[52:53], s[52:53], exec
	s_and_saveexec_b64 s[56:57], s[2:3]
	s_cbranch_execz .LBB1_452
; %bb.456:                              ;   in Loop: Header=BB1_453 Depth=4
	s_add_i32 s58, s58, 1
	v_cmp_eq_u32_e64 s[2:3], s58, v5
	s_andn2_b64 s[52:53], s[52:53], exec
	s_orn2_b64 s[54:55], s[2:3], exec
	s_branch .LBB1_452
.LBB1_457:                              ;   in Loop: Header=BB1_445 Depth=3
	s_or_b64 exec, exec, s[48:49]
	s_orn2_b64 s[48:49], s[50:51], exec
.LBB1_458:                              ;   in Loop: Header=BB1_445 Depth=3
	s_or_b64 exec, exec, s[46:47]
	s_mov_b64 s[2:3], 0
	s_and_saveexec_b64 s[46:47], s[48:49]
	s_xor_b64 s[46:47], exec, s[46:47]
; %bb.459:                              ;   in Loop: Header=BB1_445 Depth=3
	s_mov_b64 s[2:3], exec
; %bb.460:                              ;   in Loop: Header=BB1_445 Depth=3
	s_or_b64 exec, exec, s[46:47]
	s_and_b64 s[46:47], s[2:3], exec
.LBB1_461:                              ;   in Loop: Header=BB1_445 Depth=3
	s_or_b64 exec, exec, s[44:45]
	s_orn2_b64 s[44:45], s[46:47], exec
.LBB1_462:                              ;   in Loop: Header=BB1_445 Depth=3
	s_or_b64 exec, exec, s[40:41]
	s_and_b64 s[40:41], s[44:45], exec
                                        ; implicit-def: $vgpr7
                                        ; implicit-def: $vgpr0_vgpr1
.LBB1_463:                              ;   in Loop: Header=BB1_445 Depth=3
	s_andn2_saveexec_b64 s[42:43], s[42:43]
	s_cbranch_execz .LBB1_480
; %bb.464:                              ;   in Loop: Header=BB1_445 Depth=3
	v_cmp_eq_u32_e64 s[2:3], v7, v3
	s_and_saveexec_b64 s[44:45], s[2:3]
	s_cbranch_execz .LBB1_479
; %bb.465:                              ;   in Loop: Header=BB1_445 Depth=3
	global_load_dwordx4 v[6:9], v[0:1], off
	global_load_dwordx4 v[10:13], v[0:1], off offset:12
	global_load_dwordx4 v[26:29], v[24:25], off offset:4
	global_load_ubyte v5, v[24:25], off offset:24
	s_mov_b64 s[2:3], -1
	scratch_store_dword off, v2, off offset:76
	s_waitcnt vmcnt(4)
	scratch_store_dwordx4 off, v[6:9], off offset:84
	s_waitcnt vmcnt(4)
	scratch_store_dwordx4 off, v[10:13], off offset:96
	;; [unrolled: 2-line block ×3, first 2 shown]
	s_waitcnt vmcnt(4)
	scratch_store_byte off, v5, off offset:80
	s_and_saveexec_b64 s[46:47], vcc
	s_cbranch_execz .LBB1_477
; %bb.466:                              ;   in Loop: Header=BB1_445 Depth=3
	scratch_load_dword v5, off, off offset:104
	s_mov_b64 s[52:53], -1
	s_mov_b64 s[50:51], 0
	s_waitcnt vmcnt(0)
	v_bfe_u32 v5, v5, 27, 4
	v_cmp_ne_u32_e64 s[2:3], 0, v5
	s_and_saveexec_b64 s[48:49], s[2:3]
	s_cbranch_execz .LBB1_474
; %bb.467:                              ;   in Loop: Header=BB1_445 Depth=3
	s_mov_b32 s76, 0
                                        ; implicit-def: $sgpr52_sgpr53
                                        ; implicit-def: $sgpr54_sgpr55
	s_branch .LBB1_469
.LBB1_468:                              ;   in Loop: Header=BB1_469 Depth=4
	s_or_b64 exec, exec, s[58:59]
	s_and_b64 s[2:3], exec, s[56:57]
	s_or_b64 s[50:51], s[2:3], s[50:51]
	s_andn2_b64 s[2:3], s[52:53], exec
	s_and_b64 s[52:53], s[54:55], exec
	s_or_b64 s[52:53], s[2:3], s[52:53]
	s_andn2_b64 exec, exec, s[50:51]
	s_cbranch_execz .LBB1_473
.LBB1_469:                              ;   Parent Loop BB1_3 Depth=1
                                        ;     Parent Loop BB1_6 Depth=2
                                        ;       Parent Loop BB1_445 Depth=3
                                        ; =>      This Loop Header: Depth=4
                                        ;           Child Loop BB1_470 Depth 5
	s_lshl_b32 s2, s76, 2
	s_add_i32 s2, s2, 56
	scratch_load_dword v7, off, s2 offset:4
	v_mov_b32_e32 v6, 0
	s_mov_b64 s[56:57], 0
	v_mov_b32_e32 v8, v5
	s_mov_b32 s58, s65
.LBB1_470:                              ;   Parent Loop BB1_3 Depth=1
                                        ;     Parent Loop BB1_6 Depth=2
                                        ;       Parent Loop BB1_445 Depth=3
                                        ;         Parent Loop BB1_469 Depth=4
                                        ; =>        This Inner Loop Header: Depth=5
	scratch_load_dword v9, off, s58
	v_add_u32_e32 v8, -1, v8
	s_add_i32 s58, s58, 4
	v_cmp_eq_u32_e64 s[2:3], 0, v8
	s_or_b64 s[56:57], s[2:3], s[56:57]
	s_waitcnt vmcnt(0)
	v_cmp_ne_u32_e64 s[2:3], v9, v7
	s_nop 1
	v_cndmask_b32_e64 v6, 1, v6, s[2:3]
	s_andn2_b64 exec, exec, s[56:57]
	s_cbranch_execnz .LBB1_470
; %bb.471:                              ;   in Loop: Header=BB1_469 Depth=4
	s_or_b64 exec, exec, s[56:57]
	v_cmp_ne_u32_e64 s[2:3], 0, v6
	s_mov_b64 s[56:57], -1
	s_or_b64 s[54:55], s[54:55], exec
	s_and_saveexec_b64 s[58:59], s[2:3]
	s_cbranch_execz .LBB1_468
; %bb.472:                              ;   in Loop: Header=BB1_469 Depth=4
	s_add_i32 s76, s76, 1
	v_cmp_eq_u32_e64 s[2:3], s76, v4
	s_andn2_b64 s[54:55], s[54:55], exec
	s_orn2_b64 s[56:57], s[2:3], exec
	s_branch .LBB1_468
.LBB1_473:                              ;   in Loop: Header=BB1_445 Depth=3
	s_or_b64 exec, exec, s[50:51]
	s_mov_b64 s[50:51], exec
	s_orn2_b64 s[52:53], s[52:53], exec
.LBB1_474:                              ;   in Loop: Header=BB1_445 Depth=3
	s_or_b64 exec, exec, s[48:49]
	s_and_saveexec_b64 s[2:3], s[52:53]
; %bb.475:                              ;   in Loop: Header=BB1_445 Depth=3
	s_andn2_b64 s[50:51], s[50:51], exec
; %bb.476:                              ;   in Loop: Header=BB1_445 Depth=3
	s_or_b64 exec, exec, s[2:3]
	s_orn2_b64 s[2:3], s[50:51], exec
.LBB1_477:                              ;   in Loop: Header=BB1_445 Depth=3
	s_or_b64 exec, exec, s[46:47]
	s_and_b64 exec, exec, s[2:3]
	s_cbranch_execz .LBB1_479
; %bb.478:                              ;   in Loop: Header=BB1_445 Depth=3
	global_store_byte v[0:1], v31, off offset:24
.LBB1_479:                              ;   in Loop: Header=BB1_445 Depth=3
	s_or_b64 exec, exec, s[44:45]
	s_or_b64 s[40:41], s[40:41], exec
.LBB1_480:                              ;   in Loop: Header=BB1_445 Depth=3
	s_or_b64 exec, exec, s[42:43]
	s_orn2_b64 s[40:41], s[40:41], exec
.LBB1_481:                              ;   in Loop: Header=BB1_445 Depth=3
	s_or_b64 exec, exec, s[38:39]
	s_andn2_b64 s[0:1], s[0:1], exec
	s_and_b64 s[2:3], s[40:41], exec
	s_or_b64 s[0:1], s[0:1], s[2:3]
.LBB1_482:                              ;   in Loop: Header=BB1_445 Depth=3
	s_or_b64 exec, exec, s[36:37]
	s_mov_b64 s[2:3], -1
	s_or_b64 s[34:35], s[34:35], exec
	s_and_saveexec_b64 s[36:37], s[0:1]
	s_cbranch_execz .LBB1_444
; %bb.483:                              ;   in Loop: Header=BB1_445 Depth=3
	s_add_i32 s75, s75, 1
	s_cmp_eq_u32 s75, 8
	s_cselect_b64 s[0:1], -1, 0
	s_andn2_b64 s[34:35], s[34:35], exec
	s_orn2_b64 s[2:3], s[0:1], exec
	s_branch .LBB1_444
.LBB1_484:                              ;   in Loop: Header=BB1_6 Depth=2
	s_or_b64 exec, exec, s[28:29]
	s_and_saveexec_b64 s[0:1], s[30:31]
	s_xor_b64 s[0:1], exec, s[0:1]
	s_cbranch_execz .LBB1_486
; %bb.485:                              ;   in Loop: Header=BB1_6 Depth=2
	global_store_byte v[24:25], v31, off offset:24
.LBB1_486:                              ;   in Loop: Header=BB1_6 Depth=2
	s_or_b64 exec, exec, s[0:1]
.LBB1_487:                              ;   in Loop: Header=BB1_6 Depth=2
	s_or_b64 exec, exec, s[26:27]
	v_bfe_u32 v3, v2, 27, 4
	v_mov_b32_e32 v4, 0
	v_cmp_ne_u32_e32 vcc, 0, v3
	v_mov_b32_e32 v0, 0
	s_and_saveexec_b64 s[0:1], vcc
	s_cbranch_execz .LBB1_491
; %bb.488:                              ;   in Loop: Header=BB1_6 Depth=2
	v_mad_i64_i32 v[0:1], s[2:3], v39, 28, v[20:21]
	v_mov_b32_e32 v4, 0
	s_mov_b64 s[2:3], 0
	v_mov_b32_e32 v6, v3
	v_mov_b32_e32 v5, 0
.LBB1_489:                              ;   Parent Loop BB1_3 Depth=1
                                        ;     Parent Loop BB1_6 Depth=2
                                        ; =>    This Inner Loop Header: Depth=3
	global_load_dword v8, v[0:1], off
	v_add_u32_e32 v6, -1, v6
	v_cmp_eq_u32_e32 vcc, 0, v6
	s_or_b64 s[2:3], vcc, s[2:3]
	v_lshl_add_u64 v[0:1], v[0:1], 0, 4
	s_waitcnt vmcnt(0)
	v_ashrrev_i32_e32 v9, 31, v8
	v_lshl_add_u64 v[8:9], v[8:9], 2, s[12:13]
	global_load_dword v7, v[8:9], off
	s_waitcnt vmcnt(0)
	v_cmp_eq_u32_e32 vcc, 1, v7
	v_add_u32_e32 v5, v7, v5
	s_nop 0
	v_addc_co_u32_e32 v4, vcc, 0, v4, vcc
	s_andn2_b64 exec, exec, s[2:3]
	s_cbranch_execnz .LBB1_489
; %bb.490:                              ;   in Loop: Header=BB1_6 Depth=2
	s_or_b64 exec, exec, s[2:3]
	v_min_i32_e32 v0, 0x3e8, v5
.LBB1_491:                              ;   in Loop: Header=BB1_6 Depth=2
	s_or_b64 exec, exec, s[0:1]
	v_cmp_lt_u32_e32 vcc, 3, v4
	v_sub_u32_e32 v1, 5, v4
	s_nop 0
	v_cndmask_b32_sdwa v0, v0, v1, vcc dst_sel:WORD_1 dst_unused:UNUSED_PAD src0_sel:DWORD src1_sel:DWORD
	v_cmp_lt_u32_e32 vcc, 1, v3
	v_and_b32_e32 v0, 0x7ff0000, v0
	s_nop 0
	v_cndmask_b32_e32 v0, v38, v0, vcc
	v_and_or_b32 v0, v2, s73, v0
	global_store_dword v[24:25], v0, off offset:20
	v_and_b32_e32 v0, 0x70000000, v2
	v_cmp_eq_u32_e32 vcc, 0, v0
                                        ; implicit-def: $vgpr24_vgpr25
	s_nop 1
	v_cndmask_b32_e64 v6, 0, 1, vcc
.LBB1_492:                              ;   in Loop: Header=BB1_6 Depth=2
	s_andn2_saveexec_b64 s[0:1], s[24:25]
	s_cbranch_execz .LBB1_494
; %bb.493:                              ;   in Loop: Header=BB1_6 Depth=2
	v_mov_b32_e32 v6, 7
	global_store_byte v[24:25], v31, off offset:24
.LBB1_494:                              ;   in Loop: Header=BB1_6 Depth=2
	s_or_b64 exec, exec, s[0:1]
.LBB1_495:                              ;   in Loop: Header=BB1_6 Depth=2
	s_or_b64 exec, exec, s[4:5]
.LBB1_496:                              ;   in Loop: Header=BB1_6 Depth=2
	s_or_b64 exec, exec, s[22:23]
	v_cmp_gt_i32_e32 vcc, 7, v6
	s_mov_b64 s[0:1], -1
	s_and_saveexec_b64 s[2:3], vcc
; %bb.497:                              ;   in Loop: Header=BB1_6 Depth=2
	v_cmp_eq_u32_e32 vcc, 0, v6
	s_orn2_b64 s[0:1], vcc, exec
; %bb.498:                              ;   in Loop: Header=BB1_6 Depth=2
	s_or_b64 exec, exec, s[2:3]
	s_orn2_b64 s[4:5], s[0:1], exec
.LBB1_499:                              ;   in Loop: Header=BB1_6 Depth=2
	s_or_b64 exec, exec, s[20:21]
	s_mov_b64 s[0:1], -1
	s_and_saveexec_b64 s[2:3], s[4:5]
	s_cbranch_execz .LBB1_5
; %bb.500:                              ;   in Loop: Header=BB1_6 Depth=2
	s_add_i32 s74, s74, 1
	s_cmp_eq_u32 s74, 8
	s_cselect_b64 s[4:5], -1, 0
	s_xor_b64 s[0:1], exec, -1
	s_orn2_b64 s[18:19], s[4:5], exec
	s_branch .LBB1_5
.LBB1_501:                              ;   in Loop: Header=BB1_3 Depth=1
	s_or_b64 exec, exec, s[10:11]
	s_orn2_b64 s[0:1], s[16:17], exec
.LBB1_502:                              ;   in Loop: Header=BB1_3 Depth=1
	s_or_b64 exec, exec, s[8:9]
	s_mov_b64 s[2:3], -1
	s_and_saveexec_b64 s[4:5], s[0:1]
	s_cbranch_execz .LBB1_2
; %bb.503:                              ;   in Loop: Header=BB1_3 Depth=1
	s_add_i32 s66, s66, 1
	s_cmp_eq_u32 s66, 8
	s_cselect_b64 s[0:1], -1, 0
	s_orn2_b64 s[2:3], s[0:1], exec
	s_branch .LBB1_2
.LBB1_504:
	s_endpgm
	.section	.rodata,"a",@progbits
	.p2align	6, 0x0
	.amdhsa_kernel _Z12CutEnumeratePiS_S_S_S_PN2rw3CutEii
		.amdhsa_group_segment_fixed_size 60416
		.amdhsa_private_segment_fixed_size 340
		.amdhsa_kernarg_size 312
		.amdhsa_user_sgpr_count 4
		.amdhsa_user_sgpr_dispatch_ptr 1
		.amdhsa_user_sgpr_queue_ptr 0
		.amdhsa_user_sgpr_kernarg_segment_ptr 1
		.amdhsa_user_sgpr_dispatch_id 0
		.amdhsa_user_sgpr_kernarg_preload_length 0
		.amdhsa_user_sgpr_kernarg_preload_offset 0
		.amdhsa_user_sgpr_private_segment_size 0
		.amdhsa_uses_dynamic_stack 0
		.amdhsa_enable_private_segment 1
		.amdhsa_system_sgpr_workgroup_id_x 1
		.amdhsa_system_sgpr_workgroup_id_y 0
		.amdhsa_system_sgpr_workgroup_id_z 0
		.amdhsa_system_sgpr_workgroup_info 0
		.amdhsa_system_vgpr_workitem_id 2
		.amdhsa_next_free_vgpr 56
		.amdhsa_next_free_sgpr 77
		.amdhsa_accum_offset 56
		.amdhsa_reserve_vcc 1
		.amdhsa_float_round_mode_32 0
		.amdhsa_float_round_mode_16_64 0
		.amdhsa_float_denorm_mode_32 3
		.amdhsa_float_denorm_mode_16_64 3
		.amdhsa_dx10_clamp 1
		.amdhsa_ieee_mode 1
		.amdhsa_fp16_overflow 0
		.amdhsa_tg_split 0
		.amdhsa_exception_fp_ieee_invalid_op 0
		.amdhsa_exception_fp_denorm_src 0
		.amdhsa_exception_fp_ieee_div_zero 0
		.amdhsa_exception_fp_ieee_overflow 0
		.amdhsa_exception_fp_ieee_underflow 0
		.amdhsa_exception_fp_ieee_inexact 0
		.amdhsa_exception_int_div_zero 0
	.end_amdhsa_kernel
	.text
.Lfunc_end1:
	.size	_Z12CutEnumeratePiS_S_S_S_PN2rw3CutEii, .Lfunc_end1-_Z12CutEnumeratePiS_S_S_S_PN2rw3CutEii
                                        ; -- End function
	.set _Z12CutEnumeratePiS_S_S_S_PN2rw3CutEii.num_vgpr, 56
	.set _Z12CutEnumeratePiS_S_S_S_PN2rw3CutEii.num_agpr, 0
	.set _Z12CutEnumeratePiS_S_S_S_PN2rw3CutEii.numbered_sgpr, 77
	.set _Z12CutEnumeratePiS_S_S_S_PN2rw3CutEii.num_named_barrier, 0
	.set _Z12CutEnumeratePiS_S_S_S_PN2rw3CutEii.private_seg_size, 340
	.set _Z12CutEnumeratePiS_S_S_S_PN2rw3CutEii.uses_vcc, 1
	.set _Z12CutEnumeratePiS_S_S_S_PN2rw3CutEii.uses_flat_scratch, 0
	.set _Z12CutEnumeratePiS_S_S_S_PN2rw3CutEii.has_dyn_sized_stack, 0
	.set _Z12CutEnumeratePiS_S_S_S_PN2rw3CutEii.has_recursion, 0
	.set _Z12CutEnumeratePiS_S_S_S_PN2rw3CutEii.has_indirect_call, 0
	.section	.AMDGPU.csdata,"",@progbits
; Kernel info:
; codeLenInByte = 12064
; TotalNumSgprs: 83
; NumVgprs: 56
; NumAgprs: 0
; TotalNumVgprs: 56
; ScratchSize: 340
; MemoryBound: 0
; FloatMode: 240
; IeeeMode: 1
; LDSByteSize: 60416 bytes/workgroup (compile time only)
; SGPRBlocks: 10
; VGPRBlocks: 6
; NumSGPRsForWavesPerEU: 83
; NumVGPRsForWavesPerEU: 56
; AccumOffset: 56
; Occupancy: 8
; WaveLimiterHint : 1
; COMPUTE_PGM_RSRC2:SCRATCH_EN: 1
; COMPUTE_PGM_RSRC2:USER_SGPR: 4
; COMPUTE_PGM_RSRC2:TRAP_HANDLER: 0
; COMPUTE_PGM_RSRC2:TGID_X_EN: 1
; COMPUTE_PGM_RSRC2:TGID_Y_EN: 0
; COMPUTE_PGM_RSRC2:TGID_Z_EN: 0
; COMPUTE_PGM_RSRC2:TIDIG_COMP_CNT: 2
; COMPUTE_PGM_RSRC3_GFX90A:ACCUM_OFFSET: 13
; COMPUTE_PGM_RSRC3_GFX90A:TG_SPLIT: 0
	.text
	.p2align	2                               ; -- Begin function _Z8CalcMFFCiPN2rw3CutEPiS2_S2_S2_S2_S2_i
	.type	_Z8CalcMFFCiPN2rw3CutEPiS2_S2_S2_S2_S2_i,@function
_Z8CalcMFFCiPN2rw3CutEPiS2_S2_S2_S2_S2_i: ; @_Z8CalcMFFCiPN2rw3CutEPiS2_S2_S2_S2_S2_i
; %bb.0:
	s_waitcnt vmcnt(0) expcnt(0) lgkmcnt(0)
	s_mov_b32 s0, s33
	s_mov_b32 s33, s32
	s_or_saveexec_b64 s[2:3], -1
	scratch_store_dword off, v75, s33 offset:76 ; 4-byte Folded Spill
	s_mov_b64 exec, s[2:3]
	v_writelane_b32 v75, s0, 6
	s_addk_i32 s32, 0x60
	scratch_store_dword off, v40, s33 offset:72 ; 4-byte Folded Spill
	scratch_store_dword off, v41, s33 offset:68 ; 4-byte Folded Spill
	;; [unrolled: 1-line block ×18, first 2 shown]
	scratch_store_dword off, v74, s33       ; 4-byte Folded Spill
	v_writelane_b32 v75, s34, 0
	v_writelane_b32 v75, s35, 1
	;; [unrolled: 1-line block ×5, first 2 shown]
	s_nop 1
	v_writelane_b32 v75, s31, 5
	v_mov_b32_e32 v63, v2
	v_mov_b32_e32 v62, v1
	;; [unrolled: 1-line block ×15, first 2 shown]
	v_lshl_add_u64 v[72:73], v[62:63], 0, 4
	v_mov_b32_e32 v3, 0
	s_mov_b64 s[34:35], 0
	s_branch .LBB2_2
.LBB2_1:                                ;   in Loop: Header=BB2_2 Depth=1
	s_or_b64 exec, exec, s[2:3]
	s_and_b64 s[0:1], exec, s[0:1]
	s_or_b64 s[34:35], s[0:1], s[34:35]
	s_andn2_b64 exec, exec, s[34:35]
	s_cbranch_execz .LBB2_46
.LBB2_2:                                ; =>This Loop Header: Depth=1
                                        ;     Child Loop BB2_5 Depth 2
                                        ;     Child Loop BB2_12 Depth 2
	;; [unrolled: 1-line block ×4, first 2 shown]
	flat_load_dword v4, v[62:63] offset:20
	s_waitcnt vmcnt(0) lgkmcnt(0)
	v_ashrrev_i32_e32 v41, 31, v40
	v_lshl_add_u64 v[0:1], v[40:41], 2, v[60:61]
	flat_load_dword v2, v[0:1]
	v_mov_b32_e32 v74, v3
	s_mov_b64 s[2:3], -1
	s_waitcnt vmcnt(0) lgkmcnt(0)
	v_bfe_u32 v3, v4, 27, 4
	v_cmp_ne_u32_e32 vcc, 0, v3
	s_and_saveexec_b64 s[0:1], vcc
	s_cbranch_execz .LBB2_8
; %bb.3:                                ;   in Loop: Header=BB2_2 Depth=1
	s_mov_b64 s[2:3], 0
	v_mov_b64_e32 v[4:5], v[72:73]
                                        ; implicit-def: $sgpr4_sgpr5
                                        ; implicit-def: $sgpr8_sgpr9
                                        ; implicit-def: $sgpr6_sgpr7
	s_branch .LBB2_5
.LBB2_4:                                ;   in Loop: Header=BB2_5 Depth=2
	s_or_b64 exec, exec, s[10:11]
	s_xor_b64 s[10:11], s[6:7], -1
	s_and_b64 s[12:13], exec, s[8:9]
	s_or_b64 s[2:3], s[12:13], s[2:3]
	s_andn2_b64 s[4:5], s[4:5], exec
	s_and_b64 s[10:11], s[10:11], exec
	s_or_b64 s[4:5], s[4:5], s[10:11]
	s_andn2_b64 exec, exec, s[2:3]
	s_cbranch_execz .LBB2_7
.LBB2_5:                                ;   Parent Loop BB2_2 Depth=1
                                        ; =>  This Inner Loop Header: Depth=2
	flat_load_dword v6, v[4:5]
	s_or_b64 s[6:7], s[6:7], exec
	s_or_b64 s[8:9], s[8:9], exec
	s_waitcnt vmcnt(0) lgkmcnt(0)
	v_cmp_ne_u32_e32 vcc, v2, v6
	s_and_saveexec_b64 s[10:11], vcc
	s_cbranch_execz .LBB2_4
; %bb.6:                                ;   in Loop: Header=BB2_5 Depth=2
	v_add_u32_e32 v3, -1, v3
	v_cmp_eq_u32_e32 vcc, 0, v3
	s_andn2_b64 s[8:9], s[8:9], exec
	s_and_b64 s[12:13], vcc, exec
	v_lshl_add_u64 v[4:5], v[4:5], 0, 4
	s_andn2_b64 s[6:7], s[6:7], exec
	s_or_b64 s[8:9], s[8:9], s[12:13]
	s_branch .LBB2_4
.LBB2_7:                                ;   in Loop: Header=BB2_2 Depth=1
	s_or_b64 exec, exec, s[2:3]
	s_orn2_b64 s[2:3], s[4:5], exec
.LBB2_8:                                ;   in Loop: Header=BB2_2 Depth=1
	s_or_b64 exec, exec, s[0:1]
	v_mov_b32_e32 v5, 1
	s_and_saveexec_b64 s[0:1], s[2:3]
	s_cbranch_execz .LBB2_22
; %bb.9:                                ;   in Loop: Header=BB2_2 Depth=1
	flat_load_dword v3, v[56:57]
	s_mov_b64 s[4:5], 0
	v_mov_b32_e32 v5, 1
	s_waitcnt vmcnt(0) lgkmcnt(0)
	v_cmp_lt_i32_e32 vcc, 0, v3
	s_and_saveexec_b64 s[2:3], vcc
	s_cbranch_execz .LBB2_17
; %bb.10:                               ;   in Loop: Header=BB2_2 Depth=1
	s_mov_b64 s[6:7], 0
	v_mov_b64_e32 v[4:5], v[46:47]
	s_mov_b64 s[12:13], 0
                                        ; implicit-def: $sgpr4_sgpr5
                                        ; implicit-def: $sgpr10_sgpr11
                                        ; implicit-def: $sgpr8_sgpr9
	s_branch .LBB2_12
.LBB2_11:                               ;   in Loop: Header=BB2_12 Depth=2
	s_or_b64 exec, exec, s[16:17]
	s_and_b64 s[16:17], exec, s[10:11]
	s_or_b64 s[6:7], s[16:17], s[6:7]
	v_mov_b64_e32 v[6:7], s[12:13]
	s_andn2_b64 s[4:5], s[4:5], exec
	s_and_b64 s[12:13], s[8:9], exec
	s_or_b64 s[4:5], s[4:5], s[12:13]
	s_mov_b64 s[12:13], s[14:15]
	s_andn2_b64 exec, exec, s[6:7]
	s_cbranch_execz .LBB2_14
.LBB2_12:                               ;   Parent Loop BB2_2 Depth=1
                                        ; =>  This Inner Loop Header: Depth=2
	flat_load_dword v6, v[4:5]
	s_or_b64 s[8:9], s[8:9], exec
	s_or_b64 s[10:11], s[10:11], exec
                                        ; implicit-def: $sgpr14_sgpr15
	s_waitcnt vmcnt(0) lgkmcnt(0)
	v_cmp_ne_u32_e32 vcc, v6, v2
	s_and_saveexec_b64 s[16:17], vcc
	s_cbranch_execz .LBB2_11
; %bb.13:                               ;   in Loop: Header=BB2_12 Depth=2
	s_add_u32 s14, s12, 1
	v_cmp_eq_u32_e32 vcc, s14, v3
	s_addc_u32 s15, s13, 0
	s_andn2_b64 s[10:11], s[10:11], exec
	s_and_b64 s[18:19], vcc, exec
	v_lshl_add_u64 v[4:5], v[4:5], 0, 4
	s_andn2_b64 s[8:9], s[8:9], exec
	s_or_b64 s[10:11], s[10:11], s[18:19]
	s_branch .LBB2_11
.LBB2_14:                               ;   in Loop: Header=BB2_2 Depth=1
	s_or_b64 exec, exec, s[6:7]
	s_mov_b64 s[6:7], 0
	v_mov_b32_e32 v5, 1
	s_and_saveexec_b64 s[8:9], s[4:5]
	s_xor_b64 s[4:5], exec, s[8:9]
	s_cbranch_execz .LBB2_16
; %bb.15:                               ;   in Loop: Header=BB2_2 Depth=1
	v_lshl_add_u64 v[6:7], v[6:7], 2, v[44:45]
	flat_load_dword v3, v[6:7]
	s_mov_b64 s[6:7], exec
	s_waitcnt vmcnt(0) lgkmcnt(0)
	v_add_u32_e32 v5, -1, v3
	flat_store_dword v[6:7], v5
.LBB2_16:                               ;   in Loop: Header=BB2_2 Depth=1
	s_or_b64 exec, exec, s[4:5]
	s_and_b64 s[4:5], s[6:7], exec
.LBB2_17:                               ;   in Loop: Header=BB2_2 Depth=1
	s_or_b64 exec, exec, s[2:3]
	s_xor_b64 s[4:5], s[4:5], -1
	s_and_saveexec_b64 s[2:3], s[4:5]
	s_cbranch_execz .LBB2_21
; %bb.18:                               ;   in Loop: Header=BB2_2 Depth=1
	flat_load_dword v4, v[56:57]
	v_mov_b32_e32 v5, 1
	s_waitcnt vmcnt(0) lgkmcnt(0)
	v_cmp_ne_u32_e32 vcc, 8, v4
	s_and_saveexec_b64 s[4:5], vcc
	s_cbranch_execz .LBB2_20
; %bb.19:                               ;   in Loop: Header=BB2_2 Depth=1
	v_ashrrev_i32_e32 v5, 31, v4
	v_lshl_add_u64 v[4:5], v[4:5], 2, v[46:47]
	v_ashrrev_i32_e32 v3, 31, v2
	flat_store_dword v[4:5], v2
	v_lshl_add_u64 v[2:3], v[2:3], 2, v[42:43]
	flat_load_dword v5, v[2:3]
	flat_load_dword v4, v[56:57]
	s_waitcnt vmcnt(0) lgkmcnt(0)
	v_add_u32_e32 v6, -1, v5
	v_ashrrev_i32_e32 v5, 31, v4
	v_lshl_add_u64 v[4:5], v[4:5], 2, v[44:45]
	flat_store_dword v[4:5], v6
	flat_load_dword v4, v[56:57]
	s_waitcnt vmcnt(0) lgkmcnt(0)
	v_add_u32_e32 v4, 1, v4
	flat_store_dword v[56:57], v4
	flat_load_dword v2, v[2:3]
	s_waitcnt vmcnt(0) lgkmcnt(0)
	v_add_u32_e32 v5, -1, v2
.LBB2_20:                               ;   in Loop: Header=BB2_2 Depth=1
	s_or_b64 exec, exec, s[4:5]
.LBB2_21:                               ;   in Loop: Header=BB2_2 Depth=1
	s_or_b64 exec, exec, s[2:3]
.LBB2_22:                               ;   in Loop: Header=BB2_2 Depth=1
	s_or_b64 exec, exec, s[0:1]
	v_cmp_eq_u32_e32 vcc, 0, v5
	v_mov_b32_e32 v8, 1
	s_and_saveexec_b64 s[36:37], vcc
	s_cbranch_execz .LBB2_24
; %bb.23:                               ;   in Loop: Header=BB2_2 Depth=1
	flat_load_dword v0, v[0:1]
	s_getpc_b64 s[0:1]
	s_add_u32 s0, s0, _Z8CalcMFFCiPN2rw3CutEPiS2_S2_S2_S2_S2_i@rel32@lo+4
	s_addc_u32 s1, s1, _Z8CalcMFFCiPN2rw3CutEPiS2_S2_S2_S2_S2_i@rel32@hi+12
	v_mov_b32_e32 v1, v62
	v_mov_b32_e32 v2, v63
	v_mov_b32_e32 v3, v60
	v_mov_b32_e32 v4, v61
	v_mov_b32_e32 v5, v58
	v_mov_b32_e32 v6, v59
	v_mov_b32_e32 v7, v56
	v_mov_b32_e32 v8, v57
	v_mov_b32_e32 v9, v46
	v_mov_b32_e32 v10, v47
	v_mov_b32_e32 v11, v44
	v_mov_b32_e32 v12, v45
	v_mov_b32_e32 v13, v42
	v_mov_b32_e32 v14, v43
	s_swappc_b64 s[30:31], s[0:1]
	v_add_u32_e32 v8, 1, v0
.LBB2_24:                               ;   in Loop: Header=BB2_2 Depth=1
	s_or_b64 exec, exec, s[36:37]
	flat_load_dword v3, v[62:63] offset:20
	v_lshl_add_u64 v[0:1], v[40:41], 2, v[58:59]
	flat_load_dword v2, v[0:1]
	s_mov_b64 s[2:3], -1
	s_waitcnt vmcnt(0) lgkmcnt(0)
	v_bfe_u32 v3, v3, 27, 4
	v_cmp_ne_u32_e32 vcc, 0, v3
	s_and_saveexec_b64 s[0:1], vcc
	s_cbranch_execz .LBB2_30
; %bb.25:                               ;   in Loop: Header=BB2_2 Depth=1
	s_mov_b64 s[2:3], 0
	v_mov_b64_e32 v[4:5], v[72:73]
                                        ; implicit-def: $sgpr4_sgpr5
                                        ; implicit-def: $sgpr8_sgpr9
                                        ; implicit-def: $sgpr6_sgpr7
	s_branch .LBB2_27
.LBB2_26:                               ;   in Loop: Header=BB2_27 Depth=2
	s_or_b64 exec, exec, s[10:11]
	s_xor_b64 s[10:11], s[6:7], -1
	s_and_b64 s[12:13], exec, s[8:9]
	s_or_b64 s[2:3], s[12:13], s[2:3]
	s_andn2_b64 s[4:5], s[4:5], exec
	s_and_b64 s[10:11], s[10:11], exec
	s_or_b64 s[4:5], s[4:5], s[10:11]
	s_andn2_b64 exec, exec, s[2:3]
	s_cbranch_execz .LBB2_29
.LBB2_27:                               ;   Parent Loop BB2_2 Depth=1
                                        ; =>  This Inner Loop Header: Depth=2
	flat_load_dword v6, v[4:5]
	s_or_b64 s[6:7], s[6:7], exec
	s_or_b64 s[8:9], s[8:9], exec
	s_waitcnt vmcnt(0) lgkmcnt(0)
	v_cmp_ne_u32_e32 vcc, v2, v6
	s_and_saveexec_b64 s[10:11], vcc
	s_cbranch_execz .LBB2_26
; %bb.28:                               ;   in Loop: Header=BB2_27 Depth=2
	v_add_u32_e32 v3, -1, v3
	v_cmp_eq_u32_e32 vcc, 0, v3
	s_andn2_b64 s[8:9], s[8:9], exec
	s_and_b64 s[12:13], vcc, exec
	v_lshl_add_u64 v[4:5], v[4:5], 0, 4
	s_andn2_b64 s[6:7], s[6:7], exec
	s_or_b64 s[8:9], s[8:9], s[12:13]
	s_branch .LBB2_26
.LBB2_29:                               ;   in Loop: Header=BB2_2 Depth=1
	s_or_b64 exec, exec, s[2:3]
	s_orn2_b64 s[2:3], s[4:5], exec
.LBB2_30:                               ;   in Loop: Header=BB2_2 Depth=1
	s_or_b64 exec, exec, s[0:1]
	v_mov_b32_e32 v5, 1
	s_and_saveexec_b64 s[0:1], s[2:3]
	s_cbranch_execz .LBB2_44
; %bb.31:                               ;   in Loop: Header=BB2_2 Depth=1
	flat_load_dword v3, v[56:57]
	s_mov_b64 s[4:5], 0
	v_mov_b32_e32 v5, 1
	s_waitcnt vmcnt(0) lgkmcnt(0)
	v_cmp_lt_i32_e32 vcc, 0, v3
	s_and_saveexec_b64 s[2:3], vcc
	s_cbranch_execz .LBB2_39
; %bb.32:                               ;   in Loop: Header=BB2_2 Depth=1
	s_mov_b64 s[6:7], 0
	v_mov_b64_e32 v[4:5], v[46:47]
	s_mov_b64 s[12:13], 0
                                        ; implicit-def: $sgpr4_sgpr5
                                        ; implicit-def: $sgpr10_sgpr11
                                        ; implicit-def: $sgpr8_sgpr9
	s_branch .LBB2_34
.LBB2_33:                               ;   in Loop: Header=BB2_34 Depth=2
	s_or_b64 exec, exec, s[16:17]
	s_and_b64 s[16:17], exec, s[10:11]
	s_or_b64 s[6:7], s[16:17], s[6:7]
	v_mov_b64_e32 v[6:7], s[12:13]
	s_andn2_b64 s[4:5], s[4:5], exec
	s_and_b64 s[12:13], s[8:9], exec
	s_or_b64 s[4:5], s[4:5], s[12:13]
	s_mov_b64 s[12:13], s[14:15]
	s_andn2_b64 exec, exec, s[6:7]
	s_cbranch_execz .LBB2_36
.LBB2_34:                               ;   Parent Loop BB2_2 Depth=1
                                        ; =>  This Inner Loop Header: Depth=2
	flat_load_dword v6, v[4:5]
	s_or_b64 s[8:9], s[8:9], exec
	s_or_b64 s[10:11], s[10:11], exec
                                        ; implicit-def: $sgpr14_sgpr15
	s_waitcnt vmcnt(0) lgkmcnt(0)
	v_cmp_ne_u32_e32 vcc, v6, v2
	s_and_saveexec_b64 s[16:17], vcc
	s_cbranch_execz .LBB2_33
; %bb.35:                               ;   in Loop: Header=BB2_34 Depth=2
	s_add_u32 s14, s12, 1
	v_cmp_eq_u32_e32 vcc, s14, v3
	s_addc_u32 s15, s13, 0
	s_andn2_b64 s[10:11], s[10:11], exec
	s_and_b64 s[18:19], vcc, exec
	v_lshl_add_u64 v[4:5], v[4:5], 0, 4
	s_andn2_b64 s[8:9], s[8:9], exec
	s_or_b64 s[10:11], s[10:11], s[18:19]
	s_branch .LBB2_33
.LBB2_36:                               ;   in Loop: Header=BB2_2 Depth=1
	s_or_b64 exec, exec, s[6:7]
	s_mov_b64 s[6:7], 0
	v_mov_b32_e32 v5, 1
	s_and_saveexec_b64 s[8:9], s[4:5]
	s_xor_b64 s[4:5], exec, s[8:9]
	s_cbranch_execz .LBB2_38
; %bb.37:                               ;   in Loop: Header=BB2_2 Depth=1
	v_lshl_add_u64 v[6:7], v[6:7], 2, v[44:45]
	flat_load_dword v3, v[6:7]
	s_mov_b64 s[6:7], exec
	s_waitcnt vmcnt(0) lgkmcnt(0)
	v_add_u32_e32 v5, -1, v3
	flat_store_dword v[6:7], v5
.LBB2_38:                               ;   in Loop: Header=BB2_2 Depth=1
	s_or_b64 exec, exec, s[4:5]
	s_and_b64 s[4:5], s[6:7], exec
.LBB2_39:                               ;   in Loop: Header=BB2_2 Depth=1
	s_or_b64 exec, exec, s[2:3]
	s_xor_b64 s[4:5], s[4:5], -1
	s_and_saveexec_b64 s[2:3], s[4:5]
	s_cbranch_execz .LBB2_43
; %bb.40:                               ;   in Loop: Header=BB2_2 Depth=1
	flat_load_dword v4, v[56:57]
	v_mov_b32_e32 v5, 1
	s_waitcnt vmcnt(0) lgkmcnt(0)
	v_cmp_ne_u32_e32 vcc, 8, v4
	s_and_saveexec_b64 s[4:5], vcc
	s_cbranch_execz .LBB2_42
; %bb.41:                               ;   in Loop: Header=BB2_2 Depth=1
	v_ashrrev_i32_e32 v5, 31, v4
	v_lshl_add_u64 v[4:5], v[4:5], 2, v[46:47]
	v_ashrrev_i32_e32 v3, 31, v2
	flat_store_dword v[4:5], v2
	v_lshl_add_u64 v[2:3], v[2:3], 2, v[42:43]
	flat_load_dword v5, v[2:3]
	flat_load_dword v4, v[56:57]
	s_waitcnt vmcnt(0) lgkmcnt(0)
	v_add_u32_e32 v6, -1, v5
	v_ashrrev_i32_e32 v5, 31, v4
	v_lshl_add_u64 v[4:5], v[4:5], 2, v[44:45]
	flat_store_dword v[4:5], v6
	flat_load_dword v4, v[56:57]
	s_waitcnt vmcnt(0) lgkmcnt(0)
	v_add_u32_e32 v4, 1, v4
	flat_store_dword v[56:57], v4
	flat_load_dword v2, v[2:3]
	s_waitcnt vmcnt(0) lgkmcnt(0)
	v_add_u32_e32 v5, -1, v2
.LBB2_42:                               ;   in Loop: Header=BB2_2 Depth=1
	s_or_b64 exec, exec, s[4:5]
.LBB2_43:                               ;   in Loop: Header=BB2_2 Depth=1
	s_or_b64 exec, exec, s[2:3]
.LBB2_44:                               ;   in Loop: Header=BB2_2 Depth=1
	s_or_b64 exec, exec, s[0:1]
	v_cmp_eq_u32_e32 vcc, 0, v5
	s_mov_b64 s[0:1], -1
                                        ; implicit-def: $vgpr40
                                        ; implicit-def: $vgpr3
	s_and_saveexec_b64 s[2:3], vcc
	s_cbranch_execz .LBB2_1
; %bb.45:                               ;   in Loop: Header=BB2_2 Depth=1
	flat_load_dword v40, v[0:1]
	v_add_u32_e32 v3, v8, v74
	s_xor_b64 s[0:1], exec, -1
	s_branch .LBB2_1
.LBB2_46:
	s_or_b64 exec, exec, s[34:35]
	v_add_u32_e32 v0, v8, v74
	scratch_load_dword v74, off, s33        ; 4-byte Folded Reload
	scratch_load_dword v73, off, s33 offset:4 ; 4-byte Folded Reload
	scratch_load_dword v72, off, s33 offset:8 ; 4-byte Folded Reload
	;; [unrolled: 1-line block ×17, first 2 shown]
	s_waitcnt lgkmcnt(0)
	scratch_load_dword v40, off, s33 offset:72 ; 4-byte Folded Reload
	v_readlane_b32 s30, v75, 4
	v_readlane_b32 s31, v75, 5
	;; [unrolled: 1-line block ×6, first 2 shown]
	s_mov_b32 s32, s33
	v_readlane_b32 s0, v75, 6
	s_or_saveexec_b64 s[2:3], -1
	scratch_load_dword v75, off, s33 offset:76 ; 4-byte Folded Reload
	s_mov_b64 exec, s[2:3]
	s_mov_b32 s33, s0
	s_waitcnt vmcnt(0)
	s_setpc_b64 s[30:31]
.Lfunc_end2:
	.size	_Z8CalcMFFCiPN2rw3CutEPiS2_S2_S2_S2_S2_i, .Lfunc_end2-_Z8CalcMFFCiPN2rw3CutEPiS2_S2_S2_S2_S2_i
                                        ; -- End function
	.set .L_Z8CalcMFFCiPN2rw3CutEPiS2_S2_S2_S2_S2_i.num_vgpr, 76
	.set .L_Z8CalcMFFCiPN2rw3CutEPiS2_S2_S2_S2_S2_i.num_agpr, 0
	.set .L_Z8CalcMFFCiPN2rw3CutEPiS2_S2_S2_S2_S2_i.numbered_sgpr, 38
	.set .L_Z8CalcMFFCiPN2rw3CutEPiS2_S2_S2_S2_S2_i.num_named_barrier, 0
	.set .L_Z8CalcMFFCiPN2rw3CutEPiS2_S2_S2_S2_S2_i.private_seg_size, 96
	.set .L_Z8CalcMFFCiPN2rw3CutEPiS2_S2_S2_S2_S2_i.uses_vcc, 1
	.set .L_Z8CalcMFFCiPN2rw3CutEPiS2_S2_S2_S2_S2_i.uses_flat_scratch, 0
	.set .L_Z8CalcMFFCiPN2rw3CutEPiS2_S2_S2_S2_S2_i.has_dyn_sized_stack, 0
	.set .L_Z8CalcMFFCiPN2rw3CutEPiS2_S2_S2_S2_S2_i.has_recursion, 1
	.set .L_Z8CalcMFFCiPN2rw3CutEPiS2_S2_S2_S2_S2_i.has_indirect_call, 0
	.section	.AMDGPU.csdata,"",@progbits
; Function info:
; codeLenInByte = 1940
; TotalNumSgprs: 44
; NumVgprs: 76
; NumAgprs: 0
; TotalNumVgprs: 76
; ScratchSize: 96
; MemoryBound: 0
	.text
	.p2align	2                               ; -- Begin function __ockl_fprintf_append_string_n
	.type	__ockl_fprintf_append_string_n,@function
__ockl_fprintf_append_string_n:         ; @__ockl_fprintf_append_string_n
; %bb.0:
	s_waitcnt vmcnt(0) expcnt(0) lgkmcnt(0)
	v_mov_b32_e32 v9, v3
	v_mov_b32_e32 v8, v2
	v_or_b32_e32 v2, 2, v0
	v_cmp_eq_u32_e32 vcc, 0, v6
	s_mov_b32 s18, 0
	s_mov_b64 s[2:3], 0
	v_cndmask_b32_e32 v0, v2, v0, vcc
	v_cmp_ne_u64_e32 vcc, 0, v[8:9]
	v_mbcnt_lo_u32_b32 v2, -1, 0
	s_and_saveexec_b64 s[0:1], vcc
	s_xor_b64 s[4:5], exec, s[0:1]
	s_cbranch_execz .LBB3_86
; %bb.1:
	s_load_dwordx2 s[6:7], s[8:9], 0x50
	v_and_b32_e32 v6, 2, v0
	v_mov_b32_e32 v31, 0
	v_and_b32_e32 v0, -3, v0
	v_mbcnt_hi_u32_b32 v32, -1, v2
	s_movk_i32 s19, 0x1e0
	v_mov_b32_e32 v12, 2
	v_mov_b32_e32 v13, 1
	s_branch .LBB3_3
.LBB3_2:                                ;   in Loop: Header=BB3_3 Depth=1
	s_or_b64 exec, exec, s[12:13]
	v_sub_co_u32_e32 v4, vcc, v4, v34
	v_lshl_add_u64 v[8:9], v[8:9], 0, v[34:35]
	s_nop 0
	v_subb_co_u32_e32 v5, vcc, v5, v35, vcc
	v_cmp_eq_u64_e32 vcc, 0, v[4:5]
	s_or_b64 s[2:3], vcc, s[2:3]
	s_andn2_b64 exec, exec, s[2:3]
	s_cbranch_execz .LBB3_85
.LBB3_3:                                ; =>This Loop Header: Depth=1
                                        ;     Child Loop BB3_6 Depth 2
                                        ;     Child Loop BB3_14 Depth 2
	;; [unrolled: 1-line block ×11, first 2 shown]
	v_cmp_gt_u64_e32 vcc, 56, v[4:5]
	v_lshl_add_u64 v[16:17], v[8:9], 0, 8
	s_nop 0
	v_cndmask_b32_e32 v35, 0, v5, vcc
	v_cndmask_b32_e32 v34, 56, v4, vcc
	v_cmp_gt_u64_e32 vcc, 8, v[4:5]
	s_and_saveexec_b64 s[0:1], vcc
	s_xor_b64 s[0:1], exec, s[0:1]
	s_cbranch_execz .LBB3_9
; %bb.4:                                ;   in Loop: Header=BB3_3 Depth=1
	s_waitcnt vmcnt(0)
	v_mov_b64_e32 v[2:3], 0
	v_cmp_ne_u64_e32 vcc, 0, v[4:5]
	s_and_saveexec_b64 s[10:11], vcc
	s_cbranch_execz .LBB3_8
; %bb.5:                                ;   in Loop: Header=BB3_3 Depth=1
	v_lshlrev_b64 v[10:11], 3, v[34:35]
	s_mov_b64 s[12:13], 0
	v_mov_b64_e32 v[2:3], 0
	v_mov_b64_e32 v[14:15], v[8:9]
	s_mov_b64 s[14:15], 0
.LBB3_6:                                ;   Parent Loop BB3_3 Depth=1
                                        ; =>  This Inner Loop Header: Depth=2
	global_load_ubyte v7, v[14:15], off
	v_mov_b32_e32 v17, s18
	v_lshl_add_u64 v[14:15], v[14:15], 0, 1
	s_waitcnt vmcnt(0)
	v_and_b32_e32 v16, 0xffff, v7
	v_lshlrev_b64 v[16:17], s14, v[16:17]
	s_add_u32 s14, s14, 8
	s_addc_u32 s15, s15, 0
	v_cmp_eq_u32_e32 vcc, s14, v10
	v_or_b32_e32 v3, v17, v3
	s_or_b64 s[12:13], vcc, s[12:13]
	v_or_b32_e32 v2, v16, v2
	s_andn2_b64 exec, exec, s[12:13]
	s_cbranch_execnz .LBB3_6
; %bb.7:                                ;   in Loop: Header=BB3_3 Depth=1
	s_or_b64 exec, exec, s[12:13]
.LBB3_8:                                ;   in Loop: Header=BB3_3 Depth=1
	s_or_b64 exec, exec, s[10:11]
	v_mov_b64_e32 v[16:17], v[8:9]
.LBB3_9:                                ;   in Loop: Header=BB3_3 Depth=1
	s_or_saveexec_b64 s[0:1], s[0:1]
	v_mov_b32_e32 v7, 0
	s_xor_b64 exec, exec, s[0:1]
	s_cbranch_execz .LBB3_11
; %bb.10:                               ;   in Loop: Header=BB3_3 Depth=1
	global_load_dwordx2 v[2:3], v[8:9], off
	v_add_u32_e32 v7, -8, v34
.LBB3_11:                               ;   in Loop: Header=BB3_3 Depth=1
	s_or_b64 exec, exec, s[0:1]
	v_cmp_gt_u32_e32 vcc, 8, v7
	v_lshl_add_u64 v[10:11], v[16:17], 0, 8
                                        ; implicit-def: $vgpr14_vgpr15
	s_and_saveexec_b64 s[0:1], vcc
	s_xor_b64 s[0:1], exec, s[0:1]
	s_cbranch_execz .LBB3_17
; %bb.12:                               ;   in Loop: Header=BB3_3 Depth=1
	v_cmp_ne_u32_e32 vcc, 0, v7
	v_mov_b64_e32 v[14:15], 0
	s_and_saveexec_b64 s[10:11], vcc
	s_cbranch_execz .LBB3_16
; %bb.13:                               ;   in Loop: Header=BB3_3 Depth=1
	s_mov_b64 s[12:13], 0
	v_mov_b64_e32 v[14:15], 0
	s_mov_b64 s[14:15], 0
	s_mov_b64 s[16:17], 0
.LBB3_14:                               ;   Parent Loop BB3_3 Depth=1
                                        ; =>  This Inner Loop Header: Depth=2
	v_lshl_add_u64 v[10:11], v[16:17], 0, s[16:17]
	global_load_ubyte v10, v[10:11], off
	s_add_u32 s16, s16, 1
	v_mov_b32_e32 v11, s18
	s_addc_u32 s17, s17, 0
	v_cmp_eq_u32_e32 vcc, s16, v7
	s_waitcnt vmcnt(0)
	v_and_b32_e32 v10, 0xffff, v10
	v_lshlrev_b64 v[10:11], s14, v[10:11]
	s_add_u32 s14, s14, 8
	s_addc_u32 s15, s15, 0
	v_or_b32_e32 v15, v11, v15
	s_or_b64 s[12:13], vcc, s[12:13]
	v_or_b32_e32 v14, v10, v14
	s_andn2_b64 exec, exec, s[12:13]
	s_cbranch_execnz .LBB3_14
; %bb.15:                               ;   in Loop: Header=BB3_3 Depth=1
	s_or_b64 exec, exec, s[12:13]
.LBB3_16:                               ;   in Loop: Header=BB3_3 Depth=1
	s_or_b64 exec, exec, s[10:11]
	v_mov_b64_e32 v[10:11], v[16:17]
                                        ; implicit-def: $vgpr7
.LBB3_17:                               ;   in Loop: Header=BB3_3 Depth=1
	s_or_saveexec_b64 s[0:1], s[0:1]
	v_mov_b32_e32 v18, 0
	s_xor_b64 exec, exec, s[0:1]
	s_cbranch_execz .LBB3_19
; %bb.18:                               ;   in Loop: Header=BB3_3 Depth=1
	global_load_dwordx2 v[14:15], v[16:17], off
	v_add_u32_e32 v18, -8, v7
.LBB3_19:                               ;   in Loop: Header=BB3_3 Depth=1
	s_or_b64 exec, exec, s[0:1]
	v_cmp_gt_u32_e32 vcc, 8, v18
	v_lshl_add_u64 v[20:21], v[10:11], 0, 8
	s_and_saveexec_b64 s[0:1], vcc
	s_xor_b64 s[0:1], exec, s[0:1]
	s_cbranch_execz .LBB3_25
; %bb.20:                               ;   in Loop: Header=BB3_3 Depth=1
	v_cmp_ne_u32_e32 vcc, 0, v18
	v_mov_b64_e32 v[16:17], 0
	s_and_saveexec_b64 s[10:11], vcc
	s_cbranch_execz .LBB3_24
; %bb.21:                               ;   in Loop: Header=BB3_3 Depth=1
	s_mov_b64 s[12:13], 0
	v_mov_b64_e32 v[16:17], 0
	s_mov_b64 s[14:15], 0
	s_mov_b64 s[16:17], 0
.LBB3_22:                               ;   Parent Loop BB3_3 Depth=1
                                        ; =>  This Inner Loop Header: Depth=2
	v_lshl_add_u64 v[20:21], v[10:11], 0, s[16:17]
	global_load_ubyte v7, v[20:21], off
	s_add_u32 s16, s16, 1
	v_mov_b32_e32 v21, s18
	s_addc_u32 s17, s17, 0
	v_cmp_eq_u32_e32 vcc, s16, v18
	s_waitcnt vmcnt(0)
	v_and_b32_e32 v20, 0xffff, v7
	v_lshlrev_b64 v[20:21], s14, v[20:21]
	s_add_u32 s14, s14, 8
	s_addc_u32 s15, s15, 0
	v_or_b32_e32 v17, v21, v17
	s_or_b64 s[12:13], vcc, s[12:13]
	v_or_b32_e32 v16, v20, v16
	s_andn2_b64 exec, exec, s[12:13]
	s_cbranch_execnz .LBB3_22
; %bb.23:                               ;   in Loop: Header=BB3_3 Depth=1
	s_or_b64 exec, exec, s[12:13]
.LBB3_24:                               ;   in Loop: Header=BB3_3 Depth=1
	s_or_b64 exec, exec, s[10:11]
	v_mov_b64_e32 v[20:21], v[10:11]
                                        ; implicit-def: $vgpr18
.LBB3_25:                               ;   in Loop: Header=BB3_3 Depth=1
	s_or_saveexec_b64 s[0:1], s[0:1]
	v_mov_b32_e32 v7, 0
	s_xor_b64 exec, exec, s[0:1]
	s_cbranch_execz .LBB3_27
; %bb.26:                               ;   in Loop: Header=BB3_3 Depth=1
	global_load_dwordx2 v[16:17], v[10:11], off
	v_add_u32_e32 v7, -8, v18
.LBB3_27:                               ;   in Loop: Header=BB3_3 Depth=1
	s_or_b64 exec, exec, s[0:1]
	v_cmp_gt_u32_e32 vcc, 8, v7
	v_lshl_add_u64 v[10:11], v[20:21], 0, 8
                                        ; implicit-def: $vgpr18_vgpr19
	s_and_saveexec_b64 s[0:1], vcc
	s_xor_b64 s[0:1], exec, s[0:1]
	s_cbranch_execz .LBB3_33
; %bb.28:                               ;   in Loop: Header=BB3_3 Depth=1
	v_cmp_ne_u32_e32 vcc, 0, v7
	v_mov_b64_e32 v[18:19], 0
	s_and_saveexec_b64 s[10:11], vcc
	s_cbranch_execz .LBB3_32
; %bb.29:                               ;   in Loop: Header=BB3_3 Depth=1
	s_mov_b64 s[12:13], 0
	v_mov_b64_e32 v[18:19], 0
	s_mov_b64 s[14:15], 0
	s_mov_b64 s[16:17], 0
.LBB3_30:                               ;   Parent Loop BB3_3 Depth=1
                                        ; =>  This Inner Loop Header: Depth=2
	v_lshl_add_u64 v[10:11], v[20:21], 0, s[16:17]
	global_load_ubyte v10, v[10:11], off
	s_add_u32 s16, s16, 1
	v_mov_b32_e32 v11, s18
	s_addc_u32 s17, s17, 0
	v_cmp_eq_u32_e32 vcc, s16, v7
	s_waitcnt vmcnt(0)
	v_and_b32_e32 v10, 0xffff, v10
	v_lshlrev_b64 v[10:11], s14, v[10:11]
	s_add_u32 s14, s14, 8
	s_addc_u32 s15, s15, 0
	v_or_b32_e32 v19, v11, v19
	s_or_b64 s[12:13], vcc, s[12:13]
	v_or_b32_e32 v18, v10, v18
	s_andn2_b64 exec, exec, s[12:13]
	s_cbranch_execnz .LBB3_30
; %bb.31:                               ;   in Loop: Header=BB3_3 Depth=1
	s_or_b64 exec, exec, s[12:13]
.LBB3_32:                               ;   in Loop: Header=BB3_3 Depth=1
	s_or_b64 exec, exec, s[10:11]
	v_mov_b64_e32 v[10:11], v[20:21]
                                        ; implicit-def: $vgpr7
.LBB3_33:                               ;   in Loop: Header=BB3_3 Depth=1
	s_or_saveexec_b64 s[0:1], s[0:1]
	v_mov_b32_e32 v22, 0
	s_xor_b64 exec, exec, s[0:1]
	s_cbranch_execz .LBB3_35
; %bb.34:                               ;   in Loop: Header=BB3_3 Depth=1
	global_load_dwordx2 v[18:19], v[20:21], off
	v_add_u32_e32 v22, -8, v7
.LBB3_35:                               ;   in Loop: Header=BB3_3 Depth=1
	s_or_b64 exec, exec, s[0:1]
	v_cmp_gt_u32_e32 vcc, 8, v22
	v_lshl_add_u64 v[24:25], v[10:11], 0, 8
	s_and_saveexec_b64 s[0:1], vcc
	s_xor_b64 s[0:1], exec, s[0:1]
	s_cbranch_execz .LBB3_41
; %bb.36:                               ;   in Loop: Header=BB3_3 Depth=1
	v_cmp_ne_u32_e32 vcc, 0, v22
	v_mov_b64_e32 v[20:21], 0
	s_and_saveexec_b64 s[10:11], vcc
	s_cbranch_execz .LBB3_40
; %bb.37:                               ;   in Loop: Header=BB3_3 Depth=1
	s_mov_b64 s[12:13], 0
	v_mov_b64_e32 v[20:21], 0
	s_mov_b64 s[14:15], 0
	s_mov_b64 s[16:17], 0
.LBB3_38:                               ;   Parent Loop BB3_3 Depth=1
                                        ; =>  This Inner Loop Header: Depth=2
	v_lshl_add_u64 v[24:25], v[10:11], 0, s[16:17]
	global_load_ubyte v7, v[24:25], off
	s_add_u32 s16, s16, 1
	v_mov_b32_e32 v25, s18
	s_addc_u32 s17, s17, 0
	v_cmp_eq_u32_e32 vcc, s16, v22
	s_waitcnt vmcnt(0)
	v_and_b32_e32 v24, 0xffff, v7
	v_lshlrev_b64 v[24:25], s14, v[24:25]
	s_add_u32 s14, s14, 8
	s_addc_u32 s15, s15, 0
	v_or_b32_e32 v21, v25, v21
	s_or_b64 s[12:13], vcc, s[12:13]
	v_or_b32_e32 v20, v24, v20
	s_andn2_b64 exec, exec, s[12:13]
	s_cbranch_execnz .LBB3_38
; %bb.39:                               ;   in Loop: Header=BB3_3 Depth=1
	s_or_b64 exec, exec, s[12:13]
.LBB3_40:                               ;   in Loop: Header=BB3_3 Depth=1
	s_or_b64 exec, exec, s[10:11]
	v_mov_b64_e32 v[24:25], v[10:11]
                                        ; implicit-def: $vgpr22
.LBB3_41:                               ;   in Loop: Header=BB3_3 Depth=1
	s_or_saveexec_b64 s[0:1], s[0:1]
	v_mov_b32_e32 v7, 0
	s_xor_b64 exec, exec, s[0:1]
	s_cbranch_execz .LBB3_43
; %bb.42:                               ;   in Loop: Header=BB3_3 Depth=1
	global_load_dwordx2 v[20:21], v[10:11], off
	v_add_u32_e32 v7, -8, v22
.LBB3_43:                               ;   in Loop: Header=BB3_3 Depth=1
	s_or_b64 exec, exec, s[0:1]
	v_cmp_gt_u32_e32 vcc, 8, v7
	v_lshl_add_u64 v[10:11], v[24:25], 0, 8
                                        ; implicit-def: $vgpr22_vgpr23
	s_and_saveexec_b64 s[0:1], vcc
	s_xor_b64 s[0:1], exec, s[0:1]
	s_cbranch_execz .LBB3_49
; %bb.44:                               ;   in Loop: Header=BB3_3 Depth=1
	v_cmp_ne_u32_e32 vcc, 0, v7
	v_mov_b64_e32 v[22:23], 0
	s_and_saveexec_b64 s[10:11], vcc
	s_cbranch_execz .LBB3_48
; %bb.45:                               ;   in Loop: Header=BB3_3 Depth=1
	s_mov_b64 s[12:13], 0
	v_mov_b64_e32 v[22:23], 0
	s_mov_b64 s[14:15], 0
	s_mov_b64 s[16:17], 0
.LBB3_46:                               ;   Parent Loop BB3_3 Depth=1
                                        ; =>  This Inner Loop Header: Depth=2
	v_lshl_add_u64 v[10:11], v[24:25], 0, s[16:17]
	global_load_ubyte v10, v[10:11], off
	s_add_u32 s16, s16, 1
	v_mov_b32_e32 v11, s18
	s_addc_u32 s17, s17, 0
	v_cmp_eq_u32_e32 vcc, s16, v7
	s_waitcnt vmcnt(0)
	v_and_b32_e32 v10, 0xffff, v10
	v_lshlrev_b64 v[10:11], s14, v[10:11]
	s_add_u32 s14, s14, 8
	s_addc_u32 s15, s15, 0
	v_or_b32_e32 v23, v11, v23
	s_or_b64 s[12:13], vcc, s[12:13]
	v_or_b32_e32 v22, v10, v22
	s_andn2_b64 exec, exec, s[12:13]
	s_cbranch_execnz .LBB3_46
; %bb.47:                               ;   in Loop: Header=BB3_3 Depth=1
	s_or_b64 exec, exec, s[12:13]
.LBB3_48:                               ;   in Loop: Header=BB3_3 Depth=1
	s_or_b64 exec, exec, s[10:11]
	v_mov_b64_e32 v[10:11], v[24:25]
                                        ; implicit-def: $vgpr7
.LBB3_49:                               ;   in Loop: Header=BB3_3 Depth=1
	s_or_saveexec_b64 s[0:1], s[0:1]
	v_mov_b32_e32 v26, 0
	s_xor_b64 exec, exec, s[0:1]
	s_cbranch_execz .LBB3_51
; %bb.50:                               ;   in Loop: Header=BB3_3 Depth=1
	global_load_dwordx2 v[22:23], v[24:25], off
	v_add_u32_e32 v26, -8, v7
.LBB3_51:                               ;   in Loop: Header=BB3_3 Depth=1
	s_or_b64 exec, exec, s[0:1]
	v_cmp_gt_u32_e32 vcc, 8, v26
	s_and_saveexec_b64 s[0:1], vcc
	s_xor_b64 s[0:1], exec, s[0:1]
	s_cbranch_execz .LBB3_57
; %bb.52:                               ;   in Loop: Header=BB3_3 Depth=1
	v_cmp_ne_u32_e32 vcc, 0, v26
	v_mov_b64_e32 v[24:25], 0
	s_and_saveexec_b64 s[10:11], vcc
	s_cbranch_execz .LBB3_56
; %bb.53:                               ;   in Loop: Header=BB3_3 Depth=1
	s_mov_b64 s[12:13], 0
	v_mov_b64_e32 v[24:25], 0
	s_mov_b64 s[14:15], 0
.LBB3_54:                               ;   Parent Loop BB3_3 Depth=1
                                        ; =>  This Inner Loop Header: Depth=2
	global_load_ubyte v7, v[10:11], off
	v_mov_b32_e32 v29, s18
	v_add_u32_e32 v26, -1, v26
	v_cmp_eq_u32_e32 vcc, 0, v26
	v_lshl_add_u64 v[10:11], v[10:11], 0, 1
	s_waitcnt vmcnt(0)
	v_and_b32_e32 v28, 0xffff, v7
	v_lshlrev_b64 v[28:29], s14, v[28:29]
	s_add_u32 s14, s14, 8
	s_addc_u32 s15, s15, 0
	v_or_b32_e32 v25, v29, v25
	s_or_b64 s[12:13], vcc, s[12:13]
	v_or_b32_e32 v24, v28, v24
	s_andn2_b64 exec, exec, s[12:13]
	s_cbranch_execnz .LBB3_54
; %bb.55:                               ;   in Loop: Header=BB3_3 Depth=1
	s_or_b64 exec, exec, s[12:13]
.LBB3_56:                               ;   in Loop: Header=BB3_3 Depth=1
	s_or_b64 exec, exec, s[10:11]
                                        ; implicit-def: $vgpr10_vgpr11
.LBB3_57:                               ;   in Loop: Header=BB3_3 Depth=1
	s_andn2_saveexec_b64 s[0:1], s[0:1]
	s_cbranch_execz .LBB3_59
; %bb.58:                               ;   in Loop: Header=BB3_3 Depth=1
	global_load_dwordx2 v[24:25], v[10:11], off
.LBB3_59:                               ;   in Loop: Header=BB3_3 Depth=1
	s_or_b64 exec, exec, s[0:1]
	v_readfirstlane_b32 s0, v32
	v_mov_b64_e32 v[10:11], 0
	s_nop 0
	v_cmp_eq_u32_e64 s[0:1], s0, v32
	s_and_saveexec_b64 s[10:11], s[0:1]
	s_cbranch_execz .LBB3_65
; %bb.60:                               ;   in Loop: Header=BB3_3 Depth=1
	s_waitcnt lgkmcnt(0)
	global_load_dwordx2 v[28:29], v31, s[6:7] offset:24 sc0 sc1
	s_waitcnt vmcnt(0)
	buffer_inv sc0 sc1
	global_load_dwordx2 v[10:11], v31, s[6:7] offset:40
	global_load_dwordx2 v[26:27], v31, s[6:7]
	s_waitcnt vmcnt(1)
	v_and_b32_e32 v7, v10, v28
	v_and_b32_e32 v10, v11, v29
	v_mul_lo_u32 v10, v10, 24
	v_mul_hi_u32 v11, v7, 24
	v_add_u32_e32 v11, v11, v10
	v_mul_lo_u32 v10, v7, 24
	s_waitcnt vmcnt(0)
	v_lshl_add_u64 v[10:11], v[26:27], 0, v[10:11]
	global_load_dwordx2 v[26:27], v[10:11], off sc0 sc1
	s_waitcnt vmcnt(0)
	global_atomic_cmpswap_x2 v[10:11], v31, v[26:29], s[6:7] offset:24 sc0 sc1
	s_waitcnt vmcnt(0)
	buffer_inv sc0 sc1
	v_cmp_ne_u64_e32 vcc, v[10:11], v[28:29]
	s_and_saveexec_b64 s[12:13], vcc
	s_cbranch_execz .LBB3_64
; %bb.61:                               ;   in Loop: Header=BB3_3 Depth=1
	s_mov_b64 s[14:15], 0
.LBB3_62:                               ;   Parent Loop BB3_3 Depth=1
                                        ; =>  This Inner Loop Header: Depth=2
	s_sleep 1
	global_load_dwordx2 v[26:27], v31, s[6:7] offset:40
	global_load_dwordx2 v[36:37], v31, s[6:7]
	v_mov_b64_e32 v[28:29], v[10:11]
	s_waitcnt vmcnt(1)
	v_and_b32_e32 v10, v26, v28
	s_waitcnt vmcnt(0)
	v_mad_u64_u32 v[10:11], s[16:17], v10, 24, v[36:37]
	v_and_b32_e32 v7, v27, v29
	v_mov_b32_e32 v26, v11
	v_mad_u64_u32 v[26:27], s[16:17], v7, 24, v[26:27]
	v_mov_b32_e32 v11, v26
	global_load_dwordx2 v[26:27], v[10:11], off sc0 sc1
	s_waitcnt vmcnt(0)
	global_atomic_cmpswap_x2 v[10:11], v31, v[26:29], s[6:7] offset:24 sc0 sc1
	s_waitcnt vmcnt(0)
	buffer_inv sc0 sc1
	v_cmp_eq_u64_e32 vcc, v[10:11], v[28:29]
	s_or_b64 s[14:15], vcc, s[14:15]
	s_andn2_b64 exec, exec, s[14:15]
	s_cbranch_execnz .LBB3_62
; %bb.63:                               ;   in Loop: Header=BB3_3 Depth=1
	s_or_b64 exec, exec, s[14:15]
.LBB3_64:                               ;   in Loop: Header=BB3_3 Depth=1
	s_or_b64 exec, exec, s[12:13]
.LBB3_65:                               ;   in Loop: Header=BB3_3 Depth=1
	s_or_b64 exec, exec, s[10:11]
	s_waitcnt lgkmcnt(0)
	global_load_dwordx2 v[36:37], v31, s[6:7] offset:40
	global_load_dwordx4 v[26:29], v31, s[6:7]
	v_readfirstlane_b32 s11, v11
	v_readfirstlane_b32 s10, v10
	s_mov_b64 s[12:13], exec
	s_waitcnt vmcnt(1)
	v_readfirstlane_b32 s14, v36
	v_readfirstlane_b32 s15, v37
	s_and_b64 s[14:15], s[14:15], s[10:11]
	s_mul_i32 s16, s15, 24
	s_mul_hi_u32 s17, s14, 24
	s_add_i32 s17, s17, s16
	s_mul_i32 s16, s14, 24
	s_waitcnt vmcnt(0)
	v_lshl_add_u64 v[36:37], v[26:27], 0, s[16:17]
	s_and_saveexec_b64 s[16:17], s[0:1]
	s_cbranch_execz .LBB3_67
; %bb.66:                               ;   in Loop: Header=BB3_3 Depth=1
	v_mov_b64_e32 v[10:11], s[12:13]
	global_store_dwordx4 v[36:37], v[10:13], off offset:8
.LBB3_67:                               ;   in Loop: Header=BB3_3 Depth=1
	s_or_b64 exec, exec, s[16:17]
	v_cmp_gt_u64_e32 vcc, 57, v[4:5]
	s_lshl_b64 s[12:13], s[14:15], 12
	v_and_b32_e32 v0, 0xffffff1f, v0
	v_cndmask_b32_e32 v7, 0, v6, vcc
	v_lshl_add_u64 v[10:11], v[28:29], 0, s[12:13]
	v_lshl_add_u32 v28, v34, 2, 28
	v_or_b32_e32 v0, v0, v7
	v_and_or_b32 v0, v28, s19, v0
	v_lshlrev_b32_e32 v30, 6, v32
	v_readfirstlane_b32 s12, v10
	v_readfirstlane_b32 s13, v11
	s_nop 4
	global_store_dwordx4 v30, v[0:3], s[12:13]
	global_store_dwordx4 v30, v[14:17], s[12:13] offset:16
	global_store_dwordx4 v30, v[18:21], s[12:13] offset:32
	global_store_dwordx4 v30, v[22:25], s[12:13] offset:48
	s_and_saveexec_b64 s[12:13], s[0:1]
	s_cbranch_execz .LBB3_75
; %bb.68:                               ;   in Loop: Header=BB3_3 Depth=1
	global_load_dwordx2 v[18:19], v31, s[6:7] offset:32 sc0 sc1
	global_load_dwordx2 v[0:1], v31, s[6:7] offset:40
	v_mov_b32_e32 v16, s10
	v_mov_b32_e32 v17, s11
	s_waitcnt vmcnt(0)
	v_readfirstlane_b32 s14, v0
	v_readfirstlane_b32 s15, v1
	s_and_b64 s[14:15], s[14:15], s[10:11]
	s_mul_i32 s15, s15, 24
	s_mul_hi_u32 s16, s14, 24
	s_mul_i32 s14, s14, 24
	s_add_i32 s15, s16, s15
	v_lshl_add_u64 v[14:15], v[26:27], 0, s[14:15]
	global_store_dwordx2 v[14:15], v[18:19], off
	buffer_wbl2 sc0 sc1
	s_waitcnt vmcnt(0)
	global_atomic_cmpswap_x2 v[2:3], v31, v[16:19], s[6:7] offset:32 sc0 sc1
	s_waitcnt vmcnt(0)
	v_cmp_ne_u64_e32 vcc, v[2:3], v[18:19]
	s_and_saveexec_b64 s[14:15], vcc
	s_cbranch_execz .LBB3_71
; %bb.69:                               ;   in Loop: Header=BB3_3 Depth=1
	s_mov_b64 s[16:17], 0
.LBB3_70:                               ;   Parent Loop BB3_3 Depth=1
                                        ; =>  This Inner Loop Header: Depth=2
	s_sleep 1
	global_store_dwordx2 v[14:15], v[2:3], off
	v_mov_b32_e32 v0, s10
	v_mov_b32_e32 v1, s11
	buffer_wbl2 sc0 sc1
	s_waitcnt vmcnt(0)
	global_atomic_cmpswap_x2 v[0:1], v31, v[0:3], s[6:7] offset:32 sc0 sc1
	s_waitcnt vmcnt(0)
	v_cmp_eq_u64_e32 vcc, v[0:1], v[2:3]
	s_or_b64 s[16:17], vcc, s[16:17]
	v_mov_b64_e32 v[2:3], v[0:1]
	s_andn2_b64 exec, exec, s[16:17]
	s_cbranch_execnz .LBB3_70
.LBB3_71:                               ;   in Loop: Header=BB3_3 Depth=1
	s_or_b64 exec, exec, s[14:15]
	global_load_dwordx2 v[0:1], v31, s[6:7] offset:16
	s_mov_b64 s[16:17], exec
	v_mbcnt_lo_u32_b32 v2, s16, 0
	v_mbcnt_hi_u32_b32 v2, s17, v2
	v_cmp_eq_u32_e32 vcc, 0, v2
	s_and_saveexec_b64 s[14:15], vcc
	s_cbranch_execz .LBB3_73
; %bb.72:                               ;   in Loop: Header=BB3_3 Depth=1
	s_bcnt1_i32_b64 s16, s[16:17]
	v_mov_b32_e32 v2, s16
	v_mov_b32_e32 v3, v31
	buffer_wbl2 sc0 sc1
	s_waitcnt vmcnt(0)
	global_atomic_add_x2 v[0:1], v[2:3], off offset:8 sc1
.LBB3_73:                               ;   in Loop: Header=BB3_3 Depth=1
	s_or_b64 exec, exec, s[14:15]
	s_waitcnt vmcnt(0)
	global_load_dwordx2 v[2:3], v[0:1], off offset:16
	s_waitcnt vmcnt(0)
	v_cmp_eq_u64_e32 vcc, 0, v[2:3]
	s_cbranch_vccnz .LBB3_75
; %bb.74:                               ;   in Loop: Header=BB3_3 Depth=1
	global_load_dword v0, v[0:1], off offset:24
	v_mov_b32_e32 v1, v31
	s_waitcnt vmcnt(0)
	v_readfirstlane_b32 s14, v0
	s_and_b32 m0, s14, 0xffffff
	buffer_wbl2 sc0 sc1
	global_store_dwordx2 v[2:3], v[0:1], off sc0 sc1
	s_sendmsg sendmsg(MSG_INTERRUPT)
.LBB3_75:                               ;   in Loop: Header=BB3_3 Depth=1
	s_or_b64 exec, exec, s[12:13]
	v_lshl_add_u64 v[0:1], v[10:11], 0, v[30:31]
	s_branch .LBB3_79
.LBB3_76:                               ;   in Loop: Header=BB3_79 Depth=2
	s_or_b64 exec, exec, s[12:13]
	v_readfirstlane_b32 s12, v2
	s_cmp_eq_u32 s12, 0
	s_cbranch_scc1 .LBB3_78
; %bb.77:                               ;   in Loop: Header=BB3_79 Depth=2
	s_sleep 1
	s_cbranch_execnz .LBB3_79
	s_branch .LBB3_81
.LBB3_78:                               ;   in Loop: Header=BB3_3 Depth=1
	s_branch .LBB3_81
.LBB3_79:                               ;   Parent Loop BB3_3 Depth=1
                                        ; =>  This Inner Loop Header: Depth=2
	v_mov_b32_e32 v2, 1
	s_and_saveexec_b64 s[12:13], s[0:1]
	s_cbranch_execz .LBB3_76
; %bb.80:                               ;   in Loop: Header=BB3_79 Depth=2
	global_load_dword v2, v[36:37], off offset:20 sc0 sc1
	s_waitcnt vmcnt(0)
	buffer_inv sc0 sc1
	v_and_b32_e32 v2, 1, v2
	s_branch .LBB3_76
.LBB3_81:                               ;   in Loop: Header=BB3_3 Depth=1
	global_load_dwordx4 v[0:3], v[0:1], off
	s_and_saveexec_b64 s[12:13], s[0:1]
	s_cbranch_execz .LBB3_2
; %bb.82:                               ;   in Loop: Header=BB3_3 Depth=1
	global_load_dwordx2 v[2:3], v31, s[6:7] offset:40
	global_load_dwordx2 v[18:19], v31, s[6:7] offset:24 sc0 sc1
	global_load_dwordx2 v[10:11], v31, s[6:7]
	s_waitcnt vmcnt(2)
	v_readfirstlane_b32 s14, v2
	v_readfirstlane_b32 s15, v3
	s_add_u32 s16, s14, 1
	s_addc_u32 s17, s15, 0
	s_add_u32 s0, s16, s10
	s_addc_u32 s1, s17, s11
	s_cmp_eq_u64 s[0:1], 0
	s_cselect_b32 s1, s17, s1
	s_cselect_b32 s0, s16, s0
	s_and_b64 s[10:11], s[0:1], s[14:15]
	s_mul_i32 s11, s11, 24
	s_mul_hi_u32 s14, s10, 24
	s_mul_i32 s10, s10, 24
	s_add_i32 s11, s14, s11
	s_waitcnt vmcnt(0)
	v_lshl_add_u64 v[2:3], v[10:11], 0, s[10:11]
	v_mov_b32_e32 v16, s0
	global_store_dwordx2 v[2:3], v[18:19], off
	v_mov_b32_e32 v17, s1
	buffer_wbl2 sc0 sc1
	s_waitcnt vmcnt(0)
	global_atomic_cmpswap_x2 v[16:17], v31, v[16:19], s[6:7] offset:24 sc0 sc1
	s_waitcnt vmcnt(0)
	v_cmp_ne_u64_e32 vcc, v[16:17], v[18:19]
	s_and_b64 exec, exec, vcc
	s_cbranch_execz .LBB3_2
; %bb.83:                               ;   in Loop: Header=BB3_3 Depth=1
	s_mov_b64 s[10:11], 0
.LBB3_84:                               ;   Parent Loop BB3_3 Depth=1
                                        ; =>  This Inner Loop Header: Depth=2
	s_sleep 1
	global_store_dwordx2 v[2:3], v[16:17], off
	v_mov_b32_e32 v14, s0
	v_mov_b32_e32 v15, s1
	buffer_wbl2 sc0 sc1
	s_waitcnt vmcnt(0)
	global_atomic_cmpswap_x2 v[10:11], v31, v[14:17], s[6:7] offset:24 sc0 sc1
	s_waitcnt vmcnt(0)
	v_cmp_eq_u64_e32 vcc, v[10:11], v[16:17]
	s_or_b64 s[10:11], vcc, s[10:11]
	v_mov_b64_e32 v[16:17], v[10:11]
	s_andn2_b64 exec, exec, s[10:11]
	s_cbranch_execnz .LBB3_84
	s_branch .LBB3_2
.LBB3_85:
	s_or_b64 exec, exec, s[2:3]
                                        ; implicit-def: $vgpr0
                                        ; implicit-def: $vgpr1
                                        ; implicit-def: $vgpr2
.LBB3_86:
	s_andn2_saveexec_b64 s[2:3], s[4:5]
	s_cbranch_execz .LBB3_109
; %bb.87:
	s_load_dwordx2 s[4:5], s[8:9], 0x50
	s_waitcnt vmcnt(0)
	v_mbcnt_hi_u32_b32 v3, -1, v2
	v_mov_b64_e32 v[8:9], 0
	v_readfirstlane_b32 s0, v3
	s_nop 1
	v_cmp_eq_u32_e64 s[0:1], s0, v3
	s_and_saveexec_b64 s[6:7], s[0:1]
	s_cbranch_execz .LBB3_93
; %bb.88:
	v_mov_b32_e32 v2, 0
	s_waitcnt lgkmcnt(0)
	global_load_dwordx2 v[6:7], v2, s[4:5] offset:24 sc0 sc1
	s_waitcnt vmcnt(0)
	buffer_inv sc0 sc1
	global_load_dwordx2 v[4:5], v2, s[4:5] offset:40
	global_load_dwordx2 v[8:9], v2, s[4:5]
	s_waitcnt vmcnt(1)
	v_and_b32_e32 v4, v4, v6
	v_and_b32_e32 v5, v5, v7
	v_mul_lo_u32 v5, v5, 24
	v_mul_hi_u32 v10, v4, 24
	v_add_u32_e32 v5, v10, v5
	v_mul_lo_u32 v4, v4, 24
	s_waitcnt vmcnt(0)
	v_lshl_add_u64 v[4:5], v[8:9], 0, v[4:5]
	global_load_dwordx2 v[4:5], v[4:5], off sc0 sc1
	s_waitcnt vmcnt(0)
	global_atomic_cmpswap_x2 v[8:9], v2, v[4:7], s[4:5] offset:24 sc0 sc1
	s_waitcnt vmcnt(0)
	buffer_inv sc0 sc1
	v_cmp_ne_u64_e32 vcc, v[8:9], v[6:7]
	s_and_saveexec_b64 s[8:9], vcc
	s_cbranch_execz .LBB3_92
; %bb.89:
	s_mov_b64 s[10:11], 0
.LBB3_90:                               ; =>This Inner Loop Header: Depth=1
	s_sleep 1
	global_load_dwordx2 v[4:5], v2, s[4:5] offset:40
	global_load_dwordx2 v[10:11], v2, s[4:5]
	v_mov_b64_e32 v[6:7], v[8:9]
	s_waitcnt vmcnt(1)
	v_and_b32_e32 v4, v4, v6
	v_and_b32_e32 v9, v5, v7
	s_waitcnt vmcnt(0)
	v_mad_u64_u32 v[4:5], s[12:13], v4, 24, v[10:11]
	v_mov_b32_e32 v8, v5
	v_mad_u64_u32 v[8:9], s[12:13], v9, 24, v[8:9]
	v_mov_b32_e32 v5, v8
	global_load_dwordx2 v[4:5], v[4:5], off sc0 sc1
	s_waitcnt vmcnt(0)
	global_atomic_cmpswap_x2 v[8:9], v2, v[4:7], s[4:5] offset:24 sc0 sc1
	s_waitcnt vmcnt(0)
	buffer_inv sc0 sc1
	v_cmp_eq_u64_e32 vcc, v[8:9], v[6:7]
	s_or_b64 s[10:11], vcc, s[10:11]
	s_andn2_b64 exec, exec, s[10:11]
	s_cbranch_execnz .LBB3_90
; %bb.91:
	s_or_b64 exec, exec, s[10:11]
.LBB3_92:
	s_or_b64 exec, exec, s[8:9]
.LBB3_93:
	s_or_b64 exec, exec, s[6:7]
	v_mov_b32_e32 v2, 0
	s_waitcnt lgkmcnt(0)
	global_load_dwordx2 v[10:11], v2, s[4:5] offset:40
	global_load_dwordx4 v[4:7], v2, s[4:5]
	v_readfirstlane_b32 s7, v9
	v_readfirstlane_b32 s6, v8
	s_mov_b64 s[8:9], exec
	s_waitcnt vmcnt(1)
	v_readfirstlane_b32 s10, v10
	v_readfirstlane_b32 s11, v11
	s_and_b64 s[10:11], s[10:11], s[6:7]
	s_mul_i32 s12, s11, 24
	s_mul_hi_u32 s13, s10, 24
	s_add_i32 s13, s13, s12
	s_mul_i32 s12, s10, 24
	s_waitcnt vmcnt(0)
	v_lshl_add_u64 v[8:9], v[4:5], 0, s[12:13]
	s_and_saveexec_b64 s[12:13], s[0:1]
	s_cbranch_execz .LBB3_95
; %bb.94:
	v_mov_b64_e32 v[10:11], s[8:9]
	v_mov_b32_e32 v12, 2
	v_mov_b32_e32 v13, 1
	global_store_dwordx4 v[8:9], v[10:13], off offset:8
.LBB3_95:
	s_or_b64 exec, exec, s[12:13]
	s_lshl_b64 s[8:9], s[10:11], 12
	v_lshl_add_u64 v[6:7], v[6:7], 0, s[8:9]
	s_movk_i32 s8, 0xff1f
	v_and_or_b32 v0, v0, s8, 32
	s_mov_b32 s8, 0
	v_lshlrev_b32_e32 v10, 6, v3
	v_mov_b32_e32 v3, v2
	v_readfirstlane_b32 s12, v6
	v_readfirstlane_b32 s13, v7
	s_mov_b32 s9, s8
	s_mov_b32 s10, s8
	;; [unrolled: 1-line block ×3, first 2 shown]
	s_nop 1
	global_store_dwordx4 v10, v[0:3], s[12:13]
	s_nop 1
	v_mov_b64_e32 v[0:1], s[8:9]
	v_mov_b64_e32 v[2:3], s[10:11]
	global_store_dwordx4 v10, v[0:3], s[12:13] offset:16
	global_store_dwordx4 v10, v[0:3], s[12:13] offset:32
	;; [unrolled: 1-line block ×3, first 2 shown]
	s_and_saveexec_b64 s[8:9], s[0:1]
	s_cbranch_execz .LBB3_103
; %bb.96:
	v_mov_b32_e32 v6, 0
	global_load_dwordx2 v[12:13], v6, s[4:5] offset:32 sc0 sc1
	global_load_dwordx2 v[0:1], v6, s[4:5] offset:40
	v_mov_b32_e32 v10, s6
	v_mov_b32_e32 v11, s7
	s_waitcnt vmcnt(0)
	v_and_b32_e32 v0, s6, v0
	v_and_b32_e32 v1, s7, v1
	v_mul_lo_u32 v1, v1, 24
	v_mul_hi_u32 v2, v0, 24
	v_mul_lo_u32 v0, v0, 24
	v_add_u32_e32 v1, v2, v1
	v_lshl_add_u64 v[4:5], v[4:5], 0, v[0:1]
	global_store_dwordx2 v[4:5], v[12:13], off
	buffer_wbl2 sc0 sc1
	s_waitcnt vmcnt(0)
	global_atomic_cmpswap_x2 v[2:3], v6, v[10:13], s[4:5] offset:32 sc0 sc1
	s_waitcnt vmcnt(0)
	v_cmp_ne_u64_e32 vcc, v[2:3], v[12:13]
	s_and_saveexec_b64 s[10:11], vcc
	s_cbranch_execz .LBB3_99
; %bb.97:
	s_mov_b64 s[12:13], 0
.LBB3_98:                               ; =>This Inner Loop Header: Depth=1
	s_sleep 1
	global_store_dwordx2 v[4:5], v[2:3], off
	v_mov_b32_e32 v0, s6
	v_mov_b32_e32 v1, s7
	buffer_wbl2 sc0 sc1
	s_waitcnt vmcnt(0)
	global_atomic_cmpswap_x2 v[0:1], v6, v[0:3], s[4:5] offset:32 sc0 sc1
	s_waitcnt vmcnt(0)
	v_cmp_eq_u64_e32 vcc, v[0:1], v[2:3]
	s_or_b64 s[12:13], vcc, s[12:13]
	v_mov_b64_e32 v[2:3], v[0:1]
	s_andn2_b64 exec, exec, s[12:13]
	s_cbranch_execnz .LBB3_98
.LBB3_99:
	s_or_b64 exec, exec, s[10:11]
	v_mov_b32_e32 v3, 0
	global_load_dwordx2 v[0:1], v3, s[4:5] offset:16
	s_mov_b64 s[10:11], exec
	v_mbcnt_lo_u32_b32 v2, s10, 0
	v_mbcnt_hi_u32_b32 v2, s11, v2
	v_cmp_eq_u32_e32 vcc, 0, v2
	s_and_saveexec_b64 s[12:13], vcc
	s_cbranch_execz .LBB3_101
; %bb.100:
	s_bcnt1_i32_b64 s10, s[10:11]
	v_mov_b32_e32 v2, s10
	buffer_wbl2 sc0 sc1
	s_waitcnt vmcnt(0)
	global_atomic_add_x2 v[0:1], v[2:3], off offset:8 sc1
.LBB3_101:
	s_or_b64 exec, exec, s[12:13]
	s_waitcnt vmcnt(0)
	global_load_dwordx2 v[2:3], v[0:1], off offset:16
	s_waitcnt vmcnt(0)
	v_cmp_eq_u64_e32 vcc, 0, v[2:3]
	s_cbranch_vccnz .LBB3_103
; %bb.102:
	global_load_dword v0, v[0:1], off offset:24
	v_mov_b32_e32 v1, 0
	s_waitcnt vmcnt(0)
	v_readfirstlane_b32 s10, v0
	s_and_b32 m0, s10, 0xffffff
	buffer_wbl2 sc0 sc1
	global_store_dwordx2 v[2:3], v[0:1], off sc0 sc1
	s_sendmsg sendmsg(MSG_INTERRUPT)
.LBB3_103:
	s_or_b64 exec, exec, s[8:9]
	s_branch .LBB3_107
.LBB3_104:                              ;   in Loop: Header=BB3_107 Depth=1
	s_or_b64 exec, exec, s[8:9]
	v_readfirstlane_b32 s8, v0
	s_cmp_eq_u32 s8, 0
	s_cbranch_scc1 .LBB3_106
; %bb.105:                              ;   in Loop: Header=BB3_107 Depth=1
	s_sleep 1
	s_cbranch_execnz .LBB3_107
	s_branch .LBB3_110
.LBB3_106:
	s_branch .LBB3_110
.LBB3_107:                              ; =>This Inner Loop Header: Depth=1
	v_mov_b32_e32 v0, 1
	s_and_saveexec_b64 s[8:9], s[0:1]
	s_cbranch_execz .LBB3_104
; %bb.108:                              ;   in Loop: Header=BB3_107 Depth=1
	global_load_dword v0, v[8:9], off offset:20 sc0 sc1
	s_waitcnt vmcnt(0)
	buffer_inv sc0 sc1
	v_and_b32_e32 v0, 1, v0
	s_branch .LBB3_104
.LBB3_109:
	s_or_b64 exec, exec, s[2:3]
	s_waitcnt vmcnt(0) lgkmcnt(0)
	s_setpc_b64 s[30:31]
.LBB3_110:
	s_and_saveexec_b64 s[8:9], s[0:1]
	s_cbranch_execz .LBB3_113
; %bb.111:
	v_mov_b32_e32 v6, 0
	global_load_dwordx2 v[0:1], v6, s[4:5] offset:40
	global_load_dwordx2 v[10:11], v6, s[4:5] offset:24 sc0 sc1
	global_load_dwordx2 v[2:3], v6, s[4:5]
	s_waitcnt vmcnt(2)
	v_readfirstlane_b32 s10, v0
	v_readfirstlane_b32 s11, v1
	s_add_u32 s12, s10, 1
	s_addc_u32 s13, s11, 0
	s_add_u32 s0, s12, s6
	s_addc_u32 s1, s13, s7
	s_cmp_eq_u64 s[0:1], 0
	s_cselect_b32 s1, s13, s1
	s_cselect_b32 s0, s12, s0
	s_and_b64 s[6:7], s[0:1], s[10:11]
	s_mul_i32 s7, s7, 24
	s_mul_hi_u32 s10, s6, 24
	s_mul_i32 s6, s6, 24
	s_add_i32 s7, s10, s7
	s_waitcnt vmcnt(0)
	v_lshl_add_u64 v[4:5], v[2:3], 0, s[6:7]
	v_mov_b32_e32 v8, s0
	global_store_dwordx2 v[4:5], v[10:11], off
	v_mov_b32_e32 v9, s1
	buffer_wbl2 sc0 sc1
	s_waitcnt vmcnt(0)
	global_atomic_cmpswap_x2 v[2:3], v6, v[8:11], s[4:5] offset:24 sc0 sc1
	s_mov_b64 s[6:7], 0
	s_waitcnt vmcnt(0)
	v_cmp_ne_u64_e32 vcc, v[2:3], v[10:11]
	s_and_b64 exec, exec, vcc
	s_cbranch_execz .LBB3_113
.LBB3_112:                              ; =>This Inner Loop Header: Depth=1
	s_sleep 1
	global_store_dwordx2 v[4:5], v[2:3], off
	v_mov_b32_e32 v0, s0
	v_mov_b32_e32 v1, s1
	buffer_wbl2 sc0 sc1
	s_waitcnt vmcnt(0)
	global_atomic_cmpswap_x2 v[0:1], v6, v[0:3], s[4:5] offset:24 sc0 sc1
	s_waitcnt vmcnt(0)
	v_cmp_eq_u64_e32 vcc, v[0:1], v[2:3]
	s_or_b64 s[6:7], vcc, s[6:7]
	v_mov_b64_e32 v[2:3], v[0:1]
	s_andn2_b64 exec, exec, s[6:7]
	s_cbranch_execnz .LBB3_112
.LBB3_113:
	s_or_b64 exec, exec, s[8:9]
	s_or_b64 exec, exec, s[2:3]
	s_waitcnt vmcnt(0) lgkmcnt(0)
	s_setpc_b64 s[30:31]
.Lfunc_end3:
	.size	__ockl_fprintf_append_string_n, .Lfunc_end3-__ockl_fprintf_append_string_n
                                        ; -- End function
	.set .L__ockl_fprintf_append_string_n.num_vgpr, 38
	.set .L__ockl_fprintf_append_string_n.num_agpr, 0
	.set .L__ockl_fprintf_append_string_n.numbered_sgpr, 32
	.set .L__ockl_fprintf_append_string_n.num_named_barrier, 0
	.set .L__ockl_fprintf_append_string_n.private_seg_size, 0
	.set .L__ockl_fprintf_append_string_n.uses_vcc, 1
	.set .L__ockl_fprintf_append_string_n.uses_flat_scratch, 0
	.set .L__ockl_fprintf_append_string_n.has_dyn_sized_stack, 0
	.set .L__ockl_fprintf_append_string_n.has_recursion, 0
	.set .L__ockl_fprintf_append_string_n.has_indirect_call, 0
	.section	.AMDGPU.csdata,"",@progbits
; Function info:
; codeLenInByte = 3764
; TotalNumSgprs: 38
; NumVgprs: 38
; NumAgprs: 0
; TotalNumVgprs: 38
; ScratchSize: 0
; MemoryBound: 0
	.text
	.p2align	2                               ; -- Begin function __assert_fail
	.type	__assert_fail,@function
__assert_fail:                          ; @__assert_fail
; %bb.0:
	s_waitcnt vmcnt(0) expcnt(0) lgkmcnt(0)
	s_mov_b32 s20, s33
	s_mov_b32 s33, s32
	s_or_saveexec_b64 s[0:1], -1
	scratch_store_dword off, v40, s33 offset:48 ; 4-byte Folded Spill
	s_mov_b64 exec, s[0:1]
	v_writelane_b32 v40, s30, 0
	s_add_i32 s32, s32, 64
	s_nop 0
	v_writelane_b32 v40, s31, 1
	v_mov_b32_e32 v36, v3
	v_mov_b32_e32 v3, 0
	s_getpc_b64 s[0:1]
	s_add_u32 s0, s0, __const.__assert_fail.fmt@rel32@lo+35
	s_addc_u32 s1, s1, __const.__assert_fail.fmt@rel32@hi+43
	global_load_dwordx4 v[8:11], v3, s[0:1]
	s_getpc_b64 s[0:1]
	s_add_u32 s0, s0, __const.__assert_fail.fmt@rel32@lo+4
	s_addc_u32 s1, s1, __const.__assert_fail.fmt@rel32@hi+12
	s_getpc_b64 s[10:11]
	s_add_u32 s10, s10, __const.__assert_fail.fmt@rel32@lo+20
	s_addc_u32 s11, s11, __const.__assert_fail.fmt@rel32@hi+28
	s_load_dwordx4 s[4:7], s[0:1], 0x0
	s_load_dwordx4 s[12:15], s[10:11], 0x0
	s_load_dwordx2 s[2:3], s[8:9], 0x50
	v_mov_b32_e32 v6, v0
	v_mbcnt_lo_u32_b32 v0, -1, 0
	v_mbcnt_hi_u32_b32 v50, -1, v0
	s_waitcnt lgkmcnt(0)
	v_mov_b64_e32 v[14:15], s[6:7]
	v_readfirstlane_b32 s0, v50
	v_mov_b32_e32 v37, v4
	v_mov_b32_e32 v7, v1
	v_cmp_eq_u32_e64 s[0:1], s0, v50
	v_mov_b64_e32 v[12:13], s[4:5]
	v_mov_b64_e32 v[18:19], s[14:15]
	;; [unrolled: 1-line block ×4, first 2 shown]
	scratch_store_dwordx4 off, v[12:15], s33
	scratch_store_dwordx4 off, v[16:19], s33 offset:16
	s_waitcnt vmcnt(2)
	scratch_store_dwordx4 off, v[8:11], s33 offset:31
	s_and_saveexec_b64 s[4:5], s[0:1]
	s_cbranch_execz .LBB4_6
; %bb.1:
	global_load_dwordx2 v[10:11], v3, s[2:3] offset:24 sc0 sc1
	s_waitcnt vmcnt(0)
	buffer_inv sc0 sc1
	global_load_dwordx2 v[0:1], v3, s[2:3] offset:40
	global_load_dwordx2 v[4:5], v3, s[2:3]
	s_waitcnt vmcnt(1)
	v_and_b32_e32 v0, v0, v10
	v_and_b32_e32 v1, v1, v11
	v_mul_lo_u32 v1, v1, 24
	v_mul_hi_u32 v8, v0, 24
	v_add_u32_e32 v1, v8, v1
	v_mul_lo_u32 v0, v0, 24
	s_waitcnt vmcnt(0)
	v_lshl_add_u64 v[0:1], v[4:5], 0, v[0:1]
	global_load_dwordx2 v[8:9], v[0:1], off sc0 sc1
	s_waitcnt vmcnt(0)
	global_atomic_cmpswap_x2 v[0:1], v3, v[8:11], s[2:3] offset:24 sc0 sc1
	s_waitcnt vmcnt(0)
	buffer_inv sc0 sc1
	v_cmp_ne_u64_e32 vcc, v[0:1], v[10:11]
	s_and_saveexec_b64 s[6:7], vcc
	s_cbranch_execz .LBB4_5
; %bb.2:
	s_mov_b64 s[10:11], 0
	v_mov_b32_e32 v4, 0
.LBB4_3:                                ; =>This Inner Loop Header: Depth=1
	s_sleep 1
	global_load_dwordx2 v[8:9], v4, s[2:3] offset:40
	global_load_dwordx2 v[12:13], v4, s[2:3]
	v_mov_b64_e32 v[10:11], v[0:1]
	s_waitcnt vmcnt(1)
	v_and_b32_e32 v0, v8, v10
	s_waitcnt vmcnt(0)
	v_mad_u64_u32 v[0:1], s[12:13], v0, 24, v[12:13]
	v_and_b32_e32 v5, v9, v11
	v_mov_b32_e32 v8, v1
	v_mad_u64_u32 v[8:9], s[12:13], v5, 24, v[8:9]
	v_mov_b32_e32 v1, v8
	global_load_dwordx2 v[8:9], v[0:1], off sc0 sc1
	s_waitcnt vmcnt(0)
	global_atomic_cmpswap_x2 v[0:1], v4, v[8:11], s[2:3] offset:24 sc0 sc1
	s_waitcnt vmcnt(0)
	buffer_inv sc0 sc1
	v_cmp_eq_u64_e32 vcc, v[0:1], v[10:11]
	s_or_b64 s[10:11], vcc, s[10:11]
	s_andn2_b64 exec, exec, s[10:11]
	s_cbranch_execnz .LBB4_3
; %bb.4:
	s_or_b64 exec, exec, s[10:11]
.LBB4_5:
	s_or_b64 exec, exec, s[6:7]
.LBB4_6:
	s_or_b64 exec, exec, s[4:5]
	global_load_dwordx2 v[4:5], v3, s[2:3] offset:40
	global_load_dwordx4 v[8:11], v3, s[2:3]
	v_readfirstlane_b32 s5, v1
	v_readfirstlane_b32 s4, v0
	s_mov_b64 s[6:7], exec
	s_waitcnt vmcnt(1)
	v_readfirstlane_b32 s10, v4
	v_readfirstlane_b32 s11, v5
	s_and_b64 s[10:11], s[10:11], s[4:5]
	s_mul_i32 s12, s11, 24
	s_mul_hi_u32 s13, s10, 24
	s_add_i32 s13, s13, s12
	s_mul_i32 s12, s10, 24
	s_waitcnt vmcnt(0)
	v_lshl_add_u64 v[0:1], v[8:9], 0, s[12:13]
	s_and_saveexec_b64 s[12:13], s[0:1]
	s_cbranch_execz .LBB4_8
; %bb.7:
	v_mov_b64_e32 v[12:13], s[6:7]
	v_mov_b32_e32 v14, 2
	v_mov_b32_e32 v15, 1
	global_store_dwordx4 v[0:1], v[12:15], off offset:8
.LBB4_8:
	s_or_b64 exec, exec, s[12:13]
	s_lshl_b64 s[6:7], s[10:11], 12
	v_lshl_add_u64 v[4:5], v[10:11], 0, s[6:7]
	v_mov_b32_e32 v35, 0
	s_mov_b32 s12, 0
	v_lshlrev_b32_e32 v34, 6, v50
	v_mov_b32_e32 v10, 33
	v_mov_b32_e32 v12, 1
	;; [unrolled: 1-line block ×4, first 2 shown]
	v_readfirstlane_b32 s6, v4
	v_readfirstlane_b32 s7, v5
	s_mov_b32 s13, s12
	s_mov_b32 s14, s12
	;; [unrolled: 1-line block ×3, first 2 shown]
	s_nop 1
	global_store_dwordx4 v34, v[10:13], s[6:7]
	s_nop 1
	v_mov_b64_e32 v[10:11], s[12:13]
	v_mov_b64_e32 v[12:13], s[14:15]
	global_store_dwordx4 v34, v[10:13], s[6:7] offset:16
	global_store_dwordx4 v34, v[10:13], s[6:7] offset:32
	;; [unrolled: 1-line block ×3, first 2 shown]
	s_and_saveexec_b64 s[6:7], s[0:1]
	s_cbranch_execz .LBB4_16
; %bb.9:
	global_load_dwordx2 v[16:17], v35, s[2:3] offset:32 sc0 sc1
	global_load_dwordx2 v[10:11], v35, s[2:3] offset:40
	v_mov_b32_e32 v14, s4
	v_mov_b32_e32 v15, s5
	s_waitcnt vmcnt(0)
	v_and_b32_e32 v3, s4, v10
	v_and_b32_e32 v10, s5, v11
	v_mul_lo_u32 v11, v10, 24
	v_mul_hi_u32 v12, v3, 24
	v_mul_lo_u32 v10, v3, 24
	v_add_u32_e32 v11, v12, v11
	v_lshl_add_u64 v[12:13], v[8:9], 0, v[10:11]
	global_store_dwordx2 v[12:13], v[16:17], off
	buffer_wbl2 sc0 sc1
	s_waitcnt vmcnt(0)
	global_atomic_cmpswap_x2 v[10:11], v35, v[14:17], s[2:3] offset:32 sc0 sc1
	s_waitcnt vmcnt(0)
	v_cmp_ne_u64_e32 vcc, v[10:11], v[16:17]
	s_and_saveexec_b64 s[10:11], vcc
	s_cbranch_execz .LBB4_12
; %bb.10:
	s_mov_b64 s[12:13], 0
	v_mov_b32_e32 v3, 0
.LBB4_11:                               ; =>This Inner Loop Header: Depth=1
	s_sleep 1
	global_store_dwordx2 v[12:13], v[10:11], off
	v_mov_b32_e32 v8, s4
	v_mov_b32_e32 v9, s5
	buffer_wbl2 sc0 sc1
	s_waitcnt vmcnt(0)
	global_atomic_cmpswap_x2 v[8:9], v3, v[8:11], s[2:3] offset:32 sc0 sc1
	s_waitcnt vmcnt(0)
	v_cmp_eq_u64_e32 vcc, v[8:9], v[10:11]
	s_or_b64 s[12:13], vcc, s[12:13]
	v_mov_b64_e32 v[10:11], v[8:9]
	s_andn2_b64 exec, exec, s[12:13]
	s_cbranch_execnz .LBB4_11
.LBB4_12:
	s_or_b64 exec, exec, s[10:11]
	v_mov_b32_e32 v11, 0
	global_load_dwordx2 v[8:9], v11, s[2:3] offset:16
	s_mov_b64 s[10:11], exec
	v_mbcnt_lo_u32_b32 v3, s10, 0
	v_mbcnt_hi_u32_b32 v3, s11, v3
	v_cmp_eq_u32_e32 vcc, 0, v3
	s_and_saveexec_b64 s[12:13], vcc
	s_cbranch_execz .LBB4_14
; %bb.13:
	s_bcnt1_i32_b64 s10, s[10:11]
	v_mov_b32_e32 v10, s10
	buffer_wbl2 sc0 sc1
	s_waitcnt vmcnt(0)
	global_atomic_add_x2 v[8:9], v[10:11], off offset:8 sc1
.LBB4_14:
	s_or_b64 exec, exec, s[12:13]
	s_waitcnt vmcnt(0)
	global_load_dwordx2 v[10:11], v[8:9], off offset:16
	s_waitcnt vmcnt(0)
	v_cmp_eq_u64_e32 vcc, 0, v[10:11]
	s_cbranch_vccnz .LBB4_16
; %bb.15:
	global_load_dword v8, v[8:9], off offset:24
	v_mov_b32_e32 v9, 0
	s_waitcnt vmcnt(0)
	v_readfirstlane_b32 s10, v8
	s_and_b32 m0, s10, 0xffffff
	buffer_wbl2 sc0 sc1
	global_store_dwordx2 v[10:11], v[8:9], off sc0 sc1
	s_sendmsg sendmsg(MSG_INTERRUPT)
.LBB4_16:
	s_or_b64 exec, exec, s[6:7]
	v_lshl_add_u64 v[4:5], v[4:5], 0, v[34:35]
	s_branch .LBB4_20
.LBB4_17:                               ;   in Loop: Header=BB4_20 Depth=1
	s_or_b64 exec, exec, s[6:7]
	v_readfirstlane_b32 s6, v3
	s_cmp_eq_u32 s6, 0
	s_cbranch_scc1 .LBB4_19
; %bb.18:                               ;   in Loop: Header=BB4_20 Depth=1
	s_sleep 1
	s_cbranch_execnz .LBB4_20
	s_branch .LBB4_22
.LBB4_19:
	s_branch .LBB4_22
.LBB4_20:                               ; =>This Inner Loop Header: Depth=1
	v_mov_b32_e32 v3, 1
	s_and_saveexec_b64 s[6:7], s[0:1]
	s_cbranch_execz .LBB4_17
; %bb.21:                               ;   in Loop: Header=BB4_20 Depth=1
	global_load_dword v3, v[0:1], off offset:20 sc0 sc1
	s_waitcnt vmcnt(0)
	buffer_inv sc0 sc1
	v_and_b32_e32 v3, 1, v3
	s_branch .LBB4_17
.LBB4_22:
	global_load_dwordx2 v[12:13], v[4:5], off
	s_and_saveexec_b64 s[6:7], s[0:1]
	s_cbranch_execz .LBB4_25
; %bb.23:
	v_mov_b32_e32 v3, 0
	global_load_dwordx2 v[0:1], v3, s[2:3] offset:40
	global_load_dwordx2 v[16:17], v3, s[2:3] offset:24 sc0 sc1
	global_load_dwordx2 v[4:5], v3, s[2:3]
	s_waitcnt vmcnt(2)
	v_readfirstlane_b32 s10, v0
	v_readfirstlane_b32 s11, v1
	s_add_u32 s12, s10, 1
	s_addc_u32 s13, s11, 0
	s_add_u32 s0, s12, s4
	s_addc_u32 s1, s13, s5
	s_cmp_eq_u64 s[0:1], 0
	s_cselect_b32 s1, s13, s1
	s_cselect_b32 s0, s12, s0
	s_and_b64 s[4:5], s[0:1], s[10:11]
	s_mul_i32 s5, s5, 24
	s_mul_hi_u32 s10, s4, 24
	s_mul_i32 s4, s4, 24
	s_add_i32 s5, s10, s5
	s_waitcnt vmcnt(0)
	v_lshl_add_u64 v[0:1], v[4:5], 0, s[4:5]
	v_mov_b32_e32 v14, s0
	global_store_dwordx2 v[0:1], v[16:17], off
	v_mov_b32_e32 v15, s1
	buffer_wbl2 sc0 sc1
	s_waitcnt vmcnt(0)
	global_atomic_cmpswap_x2 v[10:11], v3, v[14:17], s[2:3] offset:24 sc0 sc1
	s_mov_b64 s[4:5], 0
	s_waitcnt vmcnt(0)
	v_cmp_ne_u64_e32 vcc, v[10:11], v[16:17]
	s_and_b64 exec, exec, vcc
	s_cbranch_execz .LBB4_25
.LBB4_24:                               ; =>This Inner Loop Header: Depth=1
	s_sleep 1
	global_store_dwordx2 v[0:1], v[10:11], off
	v_mov_b32_e32 v8, s0
	v_mov_b32_e32 v9, s1
	buffer_wbl2 sc0 sc1
	s_waitcnt vmcnt(0)
	global_atomic_cmpswap_x2 v[4:5], v3, v[8:11], s[2:3] offset:24 sc0 sc1
	s_waitcnt vmcnt(0)
	v_cmp_eq_u64_e32 vcc, v[4:5], v[10:11]
	s_or_b64 s[4:5], vcc, s[4:5]
	v_mov_b64_e32 v[10:11], v[4:5]
	s_andn2_b64 exec, exec, s[4:5]
	s_cbranch_execnz .LBB4_24
.LBB4_25:
	s_or_b64 exec, exec, s[6:7]
	s_mov_b32 s4, s33
	s_mov_b64 s[0:1], 0
.LBB4_26:                               ; =>This Inner Loop Header: Depth=1
	scratch_load_ubyte v1, off, s4
	s_add_i32 s4, s4, 1
	v_mov_b32_e32 v0, s4
	s_waitcnt vmcnt(0)
	v_cmp_eq_u16_e32 vcc, 0, v1
	s_or_b64 s[0:1], vcc, s[0:1]
	s_andn2_b64 exec, exec, s[0:1]
	s_cbranch_execnz .LBB4_26
; %bb.27:
	s_or_b64 exec, exec, s[0:1]
	s_cmp_lg_u32 s33, -1
	s_cbranch_scc0 .LBB4_112
; %bb.28:
	v_subrev_u32_e32 v0, s33, v0
	v_ashrrev_i32_e32 v1, 31, v0
	v_and_b32_e32 v4, 2, v12
	v_mov_b32_e32 v35, 0
	v_and_b32_e32 v8, -3, v12
	v_mov_b32_e32 v9, v13
	s_mov_b64 s[4:5], 0
	v_mov_b32_e32 v3, s33
	s_mov_b32 s16, 0
	s_movk_i32 s17, 0x1e0
	v_mov_b32_e32 v16, 2
	v_mov_b32_e32 v17, 1
	s_branch .LBB4_30
.LBB4_29:                               ;   in Loop: Header=BB4_30 Depth=1
	s_or_b64 exec, exec, s[10:11]
	v_sub_co_u32_e32 v0, vcc, v0, v38
	v_add_u32_e32 v3, v3, v38
	s_nop 0
	v_subb_co_u32_e32 v1, vcc, v1, v39, vcc
	v_cmp_eq_u64_e32 vcc, 0, v[0:1]
	s_or_b64 s[4:5], vcc, s[4:5]
	s_andn2_b64 exec, exec, s[4:5]
	s_cbranch_execz .LBB4_113
.LBB4_30:                               ; =>This Loop Header: Depth=1
                                        ;     Child Loop BB4_33 Depth 2
                                        ;     Child Loop BB4_41 Depth 2
	;; [unrolled: 1-line block ×11, first 2 shown]
	v_cmp_gt_u64_e32 vcc, 56, v[0:1]
	v_add_u32_e32 v14, 8, v3
	s_nop 0
	v_cndmask_b32_e32 v39, 0, v1, vcc
	v_cndmask_b32_e32 v38, 56, v0, vcc
	v_cmp_gt_u64_e32 vcc, 8, v[0:1]
	s_and_saveexec_b64 s[0:1], vcc
	s_xor_b64 s[0:1], exec, s[0:1]
	s_cbranch_execz .LBB4_36
; %bb.31:                               ;   in Loop: Header=BB4_30 Depth=1
	v_mov_b64_e32 v[10:11], 0
	v_cmp_ne_u64_e32 vcc, 0, v[0:1]
	s_and_saveexec_b64 s[6:7], vcc
	s_cbranch_execz .LBB4_35
; %bb.32:                               ;   in Loop: Header=BB4_30 Depth=1
	v_lshlrev_b64 v[14:15], 3, v[38:39]
	s_mov_b64 s[10:11], 0
	v_mov_b64_e32 v[10:11], 0
	s_mov_b64 s[12:13], 0
	v_mov_b32_e32 v5, v3
.LBB4_33:                               ;   Parent Loop BB4_30 Depth=1
                                        ; =>  This Inner Loop Header: Depth=2
	scratch_load_ubyte v15, v5, off
	v_mov_b32_e32 v19, s16
	v_add_u32_e32 v5, 1, v5
	s_waitcnt vmcnt(0)
	v_and_b32_e32 v18, 0xffff, v15
	v_lshlrev_b64 v[18:19], s12, v[18:19]
	s_add_u32 s12, s12, 8
	s_addc_u32 s13, s13, 0
	v_cmp_eq_u32_e32 vcc, s12, v14
	v_or_b32_e32 v11, v19, v11
	s_or_b64 s[10:11], vcc, s[10:11]
	v_or_b32_e32 v10, v18, v10
	s_andn2_b64 exec, exec, s[10:11]
	s_cbranch_execnz .LBB4_33
; %bb.34:                               ;   in Loop: Header=BB4_30 Depth=1
	s_or_b64 exec, exec, s[10:11]
.LBB4_35:                               ;   in Loop: Header=BB4_30 Depth=1
	s_or_b64 exec, exec, s[6:7]
	v_mov_b32_e32 v14, v3
.LBB4_36:                               ;   in Loop: Header=BB4_30 Depth=1
	s_or_saveexec_b64 s[0:1], s[0:1]
	v_mov_b32_e32 v15, 0
	s_xor_b64 exec, exec, s[0:1]
	s_cbranch_execz .LBB4_38
; %bb.37:                               ;   in Loop: Header=BB4_30 Depth=1
	scratch_load_dwordx2 v[10:11], v3, off
	v_add_u32_e32 v15, -8, v38
.LBB4_38:                               ;   in Loop: Header=BB4_30 Depth=1
	s_or_b64 exec, exec, s[0:1]
	v_cmp_gt_u32_e32 vcc, 8, v15
	v_add_u32_e32 v5, 8, v14
                                        ; implicit-def: $vgpr18_vgpr19
	s_and_saveexec_b64 s[0:1], vcc
	s_xor_b64 s[0:1], exec, s[0:1]
	s_cbranch_execz .LBB4_44
; %bb.39:                               ;   in Loop: Header=BB4_30 Depth=1
	v_cmp_ne_u32_e32 vcc, 0, v15
	v_mov_b64_e32 v[18:19], 0
	s_and_saveexec_b64 s[6:7], vcc
	s_cbranch_execz .LBB4_43
; %bb.40:                               ;   in Loop: Header=BB4_30 Depth=1
	s_mov_b32 s14, 0
	s_mov_b64 s[10:11], 0
	v_mov_b64_e32 v[18:19], 0
	s_mov_b64 s[12:13], 0
.LBB4_41:                               ;   Parent Loop BB4_30 Depth=1
                                        ; =>  This Inner Loop Header: Depth=2
	v_add_u32_e32 v5, s14, v14
	scratch_load_ubyte v5, v5, off
	v_mov_b32_e32 v21, s16
	s_add_i32 s14, s14, 1
	v_cmp_eq_u32_e32 vcc, s14, v15
	s_waitcnt vmcnt(0)
	v_and_b32_e32 v20, 0xffff, v5
	v_lshlrev_b64 v[20:21], s12, v[20:21]
	s_add_u32 s12, s12, 8
	s_addc_u32 s13, s13, 0
	v_or_b32_e32 v19, v21, v19
	s_or_b64 s[10:11], vcc, s[10:11]
	v_or_b32_e32 v18, v20, v18
	s_andn2_b64 exec, exec, s[10:11]
	s_cbranch_execnz .LBB4_41
; %bb.42:                               ;   in Loop: Header=BB4_30 Depth=1
	s_or_b64 exec, exec, s[10:11]
.LBB4_43:                               ;   in Loop: Header=BB4_30 Depth=1
	s_or_b64 exec, exec, s[6:7]
	v_mov_b32_e32 v5, v14
                                        ; implicit-def: $vgpr15
.LBB4_44:                               ;   in Loop: Header=BB4_30 Depth=1
	s_or_saveexec_b64 s[0:1], s[0:1]
	v_mov_b32_e32 v22, 0
	s_xor_b64 exec, exec, s[0:1]
	s_cbranch_execz .LBB4_46
; %bb.45:                               ;   in Loop: Header=BB4_30 Depth=1
	scratch_load_dwordx2 v[18:19], v14, off
	v_add_u32_e32 v22, -8, v15
.LBB4_46:                               ;   in Loop: Header=BB4_30 Depth=1
	s_or_b64 exec, exec, s[0:1]
	v_cmp_gt_u32_e32 vcc, 8, v22
	v_add_u32_e32 v14, 8, v5
	s_and_saveexec_b64 s[0:1], vcc
	s_xor_b64 s[0:1], exec, s[0:1]
	s_cbranch_execz .LBB4_52
; %bb.47:                               ;   in Loop: Header=BB4_30 Depth=1
	v_cmp_ne_u32_e32 vcc, 0, v22
	v_mov_b64_e32 v[20:21], 0
	s_and_saveexec_b64 s[6:7], vcc
	s_cbranch_execz .LBB4_51
; %bb.48:                               ;   in Loop: Header=BB4_30 Depth=1
	s_mov_b32 s14, 0
	s_mov_b64 s[10:11], 0
	v_mov_b64_e32 v[20:21], 0
	s_mov_b64 s[12:13], 0
.LBB4_49:                               ;   Parent Loop BB4_30 Depth=1
                                        ; =>  This Inner Loop Header: Depth=2
	v_add_u32_e32 v14, s14, v5
	scratch_load_ubyte v14, v14, off
	v_mov_b32_e32 v15, s16
	s_add_i32 s14, s14, 1
	v_cmp_eq_u32_e32 vcc, s14, v22
	s_waitcnt vmcnt(0)
	v_and_b32_e32 v14, 0xffff, v14
	v_lshlrev_b64 v[14:15], s12, v[14:15]
	s_add_u32 s12, s12, 8
	s_addc_u32 s13, s13, 0
	v_or_b32_e32 v21, v15, v21
	s_or_b64 s[10:11], vcc, s[10:11]
	v_or_b32_e32 v20, v14, v20
	s_andn2_b64 exec, exec, s[10:11]
	s_cbranch_execnz .LBB4_49
; %bb.50:                               ;   in Loop: Header=BB4_30 Depth=1
	s_or_b64 exec, exec, s[10:11]
.LBB4_51:                               ;   in Loop: Header=BB4_30 Depth=1
	s_or_b64 exec, exec, s[6:7]
	v_mov_b32_e32 v14, v5
                                        ; implicit-def: $vgpr22
.LBB4_52:                               ;   in Loop: Header=BB4_30 Depth=1
	s_or_saveexec_b64 s[0:1], s[0:1]
	v_mov_b32_e32 v15, 0
	s_xor_b64 exec, exec, s[0:1]
	s_cbranch_execz .LBB4_54
; %bb.53:                               ;   in Loop: Header=BB4_30 Depth=1
	scratch_load_dwordx2 v[20:21], v5, off
	v_add_u32_e32 v15, -8, v22
.LBB4_54:                               ;   in Loop: Header=BB4_30 Depth=1
	s_or_b64 exec, exec, s[0:1]
	v_cmp_gt_u32_e32 vcc, 8, v15
	v_add_u32_e32 v5, 8, v14
                                        ; implicit-def: $vgpr22_vgpr23
	s_and_saveexec_b64 s[0:1], vcc
	s_xor_b64 s[0:1], exec, s[0:1]
	s_cbranch_execz .LBB4_60
; %bb.55:                               ;   in Loop: Header=BB4_30 Depth=1
	v_cmp_ne_u32_e32 vcc, 0, v15
	v_mov_b64_e32 v[22:23], 0
	s_and_saveexec_b64 s[6:7], vcc
	s_cbranch_execz .LBB4_59
; %bb.56:                               ;   in Loop: Header=BB4_30 Depth=1
	s_mov_b32 s14, 0
	s_mov_b64 s[10:11], 0
	v_mov_b64_e32 v[22:23], 0
	s_mov_b64 s[12:13], 0
.LBB4_57:                               ;   Parent Loop BB4_30 Depth=1
                                        ; =>  This Inner Loop Header: Depth=2
	v_add_u32_e32 v5, s14, v14
	scratch_load_ubyte v5, v5, off
	v_mov_b32_e32 v25, s16
	s_add_i32 s14, s14, 1
	v_cmp_eq_u32_e32 vcc, s14, v15
	s_waitcnt vmcnt(0)
	v_and_b32_e32 v24, 0xffff, v5
	v_lshlrev_b64 v[24:25], s12, v[24:25]
	s_add_u32 s12, s12, 8
	s_addc_u32 s13, s13, 0
	v_or_b32_e32 v23, v25, v23
	s_or_b64 s[10:11], vcc, s[10:11]
	v_or_b32_e32 v22, v24, v22
	s_andn2_b64 exec, exec, s[10:11]
	s_cbranch_execnz .LBB4_57
; %bb.58:                               ;   in Loop: Header=BB4_30 Depth=1
	s_or_b64 exec, exec, s[10:11]
.LBB4_59:                               ;   in Loop: Header=BB4_30 Depth=1
	s_or_b64 exec, exec, s[6:7]
	v_mov_b32_e32 v5, v14
                                        ; implicit-def: $vgpr15
.LBB4_60:                               ;   in Loop: Header=BB4_30 Depth=1
	s_or_saveexec_b64 s[0:1], s[0:1]
	v_mov_b32_e32 v26, 0
	s_xor_b64 exec, exec, s[0:1]
	s_cbranch_execz .LBB4_62
; %bb.61:                               ;   in Loop: Header=BB4_30 Depth=1
	scratch_load_dwordx2 v[22:23], v14, off
	v_add_u32_e32 v26, -8, v15
.LBB4_62:                               ;   in Loop: Header=BB4_30 Depth=1
	s_or_b64 exec, exec, s[0:1]
	v_cmp_gt_u32_e32 vcc, 8, v26
	v_add_u32_e32 v14, 8, v5
	s_and_saveexec_b64 s[0:1], vcc
	s_xor_b64 s[0:1], exec, s[0:1]
	s_cbranch_execz .LBB4_68
; %bb.63:                               ;   in Loop: Header=BB4_30 Depth=1
	v_cmp_ne_u32_e32 vcc, 0, v26
	v_mov_b64_e32 v[24:25], 0
	s_and_saveexec_b64 s[6:7], vcc
	s_cbranch_execz .LBB4_67
; %bb.64:                               ;   in Loop: Header=BB4_30 Depth=1
	s_mov_b32 s14, 0
	s_mov_b64 s[10:11], 0
	v_mov_b64_e32 v[24:25], 0
	s_mov_b64 s[12:13], 0
.LBB4_65:                               ;   Parent Loop BB4_30 Depth=1
                                        ; =>  This Inner Loop Header: Depth=2
	v_add_u32_e32 v14, s14, v5
	scratch_load_ubyte v14, v14, off
	v_mov_b32_e32 v15, s16
	s_add_i32 s14, s14, 1
	v_cmp_eq_u32_e32 vcc, s14, v26
	s_waitcnt vmcnt(0)
	v_and_b32_e32 v14, 0xffff, v14
	v_lshlrev_b64 v[14:15], s12, v[14:15]
	s_add_u32 s12, s12, 8
	s_addc_u32 s13, s13, 0
	v_or_b32_e32 v25, v15, v25
	s_or_b64 s[10:11], vcc, s[10:11]
	v_or_b32_e32 v24, v14, v24
	s_andn2_b64 exec, exec, s[10:11]
	s_cbranch_execnz .LBB4_65
; %bb.66:                               ;   in Loop: Header=BB4_30 Depth=1
	s_or_b64 exec, exec, s[10:11]
.LBB4_67:                               ;   in Loop: Header=BB4_30 Depth=1
	s_or_b64 exec, exec, s[6:7]
	v_mov_b32_e32 v14, v5
                                        ; implicit-def: $vgpr26
.LBB4_68:                               ;   in Loop: Header=BB4_30 Depth=1
	s_or_saveexec_b64 s[0:1], s[0:1]
	v_mov_b32_e32 v15, 0
	s_xor_b64 exec, exec, s[0:1]
	s_cbranch_execz .LBB4_70
; %bb.69:                               ;   in Loop: Header=BB4_30 Depth=1
	scratch_load_dwordx2 v[24:25], v5, off
	v_add_u32_e32 v15, -8, v26
.LBB4_70:                               ;   in Loop: Header=BB4_30 Depth=1
	s_or_b64 exec, exec, s[0:1]
	v_cmp_gt_u32_e32 vcc, 8, v15
	v_add_u32_e32 v5, 8, v14
                                        ; implicit-def: $vgpr26_vgpr27
	s_and_saveexec_b64 s[0:1], vcc
	s_xor_b64 s[0:1], exec, s[0:1]
	s_cbranch_execz .LBB4_76
; %bb.71:                               ;   in Loop: Header=BB4_30 Depth=1
	v_cmp_ne_u32_e32 vcc, 0, v15
	v_mov_b64_e32 v[26:27], 0
	s_and_saveexec_b64 s[6:7], vcc
	s_cbranch_execz .LBB4_75
; %bb.72:                               ;   in Loop: Header=BB4_30 Depth=1
	s_mov_b32 s14, 0
	s_mov_b64 s[10:11], 0
	v_mov_b64_e32 v[26:27], 0
	s_mov_b64 s[12:13], 0
.LBB4_73:                               ;   Parent Loop BB4_30 Depth=1
                                        ; =>  This Inner Loop Header: Depth=2
	v_add_u32_e32 v5, s14, v14
	scratch_load_ubyte v5, v5, off
	v_mov_b32_e32 v29, s16
	s_add_i32 s14, s14, 1
	v_cmp_eq_u32_e32 vcc, s14, v15
	s_waitcnt vmcnt(0)
	v_and_b32_e32 v28, 0xffff, v5
	v_lshlrev_b64 v[28:29], s12, v[28:29]
	s_add_u32 s12, s12, 8
	s_addc_u32 s13, s13, 0
	v_or_b32_e32 v27, v29, v27
	s_or_b64 s[10:11], vcc, s[10:11]
	v_or_b32_e32 v26, v28, v26
	s_andn2_b64 exec, exec, s[10:11]
	s_cbranch_execnz .LBB4_73
; %bb.74:                               ;   in Loop: Header=BB4_30 Depth=1
	s_or_b64 exec, exec, s[10:11]
.LBB4_75:                               ;   in Loop: Header=BB4_30 Depth=1
	s_or_b64 exec, exec, s[6:7]
	v_mov_b32_e32 v5, v14
                                        ; implicit-def: $vgpr15
.LBB4_76:                               ;   in Loop: Header=BB4_30 Depth=1
	s_or_saveexec_b64 s[0:1], s[0:1]
	v_mov_b32_e32 v30, 0
	s_xor_b64 exec, exec, s[0:1]
	s_cbranch_execz .LBB4_78
; %bb.77:                               ;   in Loop: Header=BB4_30 Depth=1
	scratch_load_dwordx2 v[26:27], v14, off
	v_add_u32_e32 v30, -8, v15
.LBB4_78:                               ;   in Loop: Header=BB4_30 Depth=1
	s_or_b64 exec, exec, s[0:1]
	v_cmp_gt_u32_e32 vcc, 8, v30
	s_and_saveexec_b64 s[0:1], vcc
	s_xor_b64 s[0:1], exec, s[0:1]
	s_cbranch_execz .LBB4_84
; %bb.79:                               ;   in Loop: Header=BB4_30 Depth=1
	v_cmp_ne_u32_e32 vcc, 0, v30
	v_mov_b64_e32 v[28:29], 0
	s_and_saveexec_b64 s[6:7], vcc
	s_cbranch_execz .LBB4_83
; %bb.80:                               ;   in Loop: Header=BB4_30 Depth=1
	s_mov_b64 s[10:11], 0
	v_mov_b64_e32 v[28:29], 0
	s_mov_b64 s[12:13], 0
.LBB4_81:                               ;   Parent Loop BB4_30 Depth=1
                                        ; =>  This Inner Loop Header: Depth=2
	scratch_load_ubyte v14, v5, off
	v_mov_b32_e32 v15, s16
	v_add_u32_e32 v30, -1, v30
	v_cmp_eq_u32_e32 vcc, 0, v30
	v_add_u32_e32 v5, 1, v5
	s_waitcnt vmcnt(0)
	v_and_b32_e32 v14, 0xffff, v14
	v_lshlrev_b64 v[14:15], s12, v[14:15]
	s_add_u32 s12, s12, 8
	s_addc_u32 s13, s13, 0
	v_or_b32_e32 v29, v15, v29
	s_or_b64 s[10:11], vcc, s[10:11]
	v_or_b32_e32 v28, v14, v28
	s_andn2_b64 exec, exec, s[10:11]
	s_cbranch_execnz .LBB4_81
; %bb.82:                               ;   in Loop: Header=BB4_30 Depth=1
	s_or_b64 exec, exec, s[10:11]
.LBB4_83:                               ;   in Loop: Header=BB4_30 Depth=1
	s_or_b64 exec, exec, s[6:7]
                                        ; implicit-def: $vgpr5
.LBB4_84:                               ;   in Loop: Header=BB4_30 Depth=1
	s_andn2_saveexec_b64 s[0:1], s[0:1]
	s_cbranch_execz .LBB4_86
; %bb.85:                               ;   in Loop: Header=BB4_30 Depth=1
	scratch_load_dwordx2 v[28:29], v5, off
.LBB4_86:                               ;   in Loop: Header=BB4_30 Depth=1
	s_or_b64 exec, exec, s[0:1]
	v_readfirstlane_b32 s0, v50
	v_mov_b64_e32 v[14:15], 0
	s_nop 0
	v_cmp_eq_u32_e64 s[0:1], s0, v50
	s_and_saveexec_b64 s[6:7], s[0:1]
	s_cbranch_execz .LBB4_92
; %bb.87:                               ;   in Loop: Header=BB4_30 Depth=1
	global_load_dwordx2 v[32:33], v35, s[2:3] offset:24 sc0 sc1
	s_waitcnt vmcnt(0)
	buffer_inv sc0 sc1
	global_load_dwordx2 v[14:15], v35, s[2:3] offset:40
	global_load_dwordx2 v[30:31], v35, s[2:3]
	s_waitcnt vmcnt(1)
	v_and_b32_e32 v5, v14, v32
	v_and_b32_e32 v14, v15, v33
	v_mul_lo_u32 v14, v14, 24
	v_mul_hi_u32 v15, v5, 24
	v_add_u32_e32 v15, v15, v14
	v_mul_lo_u32 v14, v5, 24
	s_waitcnt vmcnt(0)
	v_lshl_add_u64 v[14:15], v[30:31], 0, v[14:15]
	global_load_dwordx2 v[30:31], v[14:15], off sc0 sc1
	s_waitcnt vmcnt(0)
	global_atomic_cmpswap_x2 v[14:15], v35, v[30:33], s[2:3] offset:24 sc0 sc1
	s_waitcnt vmcnt(0)
	buffer_inv sc0 sc1
	v_cmp_ne_u64_e32 vcc, v[14:15], v[32:33]
	s_and_saveexec_b64 s[10:11], vcc
	s_cbranch_execz .LBB4_91
; %bb.88:                               ;   in Loop: Header=BB4_30 Depth=1
	s_mov_b64 s[12:13], 0
.LBB4_89:                               ;   Parent Loop BB4_30 Depth=1
                                        ; =>  This Inner Loop Header: Depth=2
	s_sleep 1
	global_load_dwordx2 v[30:31], v35, s[2:3] offset:40
	global_load_dwordx2 v[48:49], v35, s[2:3]
	v_mov_b64_e32 v[32:33], v[14:15]
	s_waitcnt vmcnt(1)
	v_and_b32_e32 v14, v30, v32
	s_waitcnt vmcnt(0)
	v_mad_u64_u32 v[14:15], s[14:15], v14, 24, v[48:49]
	v_and_b32_e32 v5, v31, v33
	v_mov_b32_e32 v30, v15
	v_mad_u64_u32 v[30:31], s[14:15], v5, 24, v[30:31]
	v_mov_b32_e32 v15, v30
	global_load_dwordx2 v[30:31], v[14:15], off sc0 sc1
	s_waitcnt vmcnt(0)
	global_atomic_cmpswap_x2 v[14:15], v35, v[30:33], s[2:3] offset:24 sc0 sc1
	s_waitcnt vmcnt(0)
	buffer_inv sc0 sc1
	v_cmp_eq_u64_e32 vcc, v[14:15], v[32:33]
	s_or_b64 s[12:13], vcc, s[12:13]
	s_andn2_b64 exec, exec, s[12:13]
	s_cbranch_execnz .LBB4_89
; %bb.90:                               ;   in Loop: Header=BB4_30 Depth=1
	s_or_b64 exec, exec, s[12:13]
.LBB4_91:                               ;   in Loop: Header=BB4_30 Depth=1
	s_or_b64 exec, exec, s[10:11]
.LBB4_92:                               ;   in Loop: Header=BB4_30 Depth=1
	s_or_b64 exec, exec, s[6:7]
	global_load_dwordx2 v[48:49], v35, s[2:3] offset:40
	global_load_dwordx4 v[30:33], v35, s[2:3]
	v_readfirstlane_b32 s7, v15
	v_readfirstlane_b32 s6, v14
	s_mov_b64 s[10:11], exec
	s_waitcnt vmcnt(1)
	v_readfirstlane_b32 s12, v48
	v_readfirstlane_b32 s13, v49
	s_and_b64 s[12:13], s[12:13], s[6:7]
	s_mul_i32 s14, s13, 24
	s_mul_hi_u32 s15, s12, 24
	s_add_i32 s15, s15, s14
	s_mul_i32 s14, s12, 24
	s_waitcnt vmcnt(0)
	v_lshl_add_u64 v[48:49], v[30:31], 0, s[14:15]
	s_and_saveexec_b64 s[14:15], s[0:1]
	s_cbranch_execz .LBB4_94
; %bb.93:                               ;   in Loop: Header=BB4_30 Depth=1
	v_mov_b64_e32 v[14:15], s[10:11]
	global_store_dwordx4 v[48:49], v[14:17], off offset:8
.LBB4_94:                               ;   in Loop: Header=BB4_30 Depth=1
	s_or_b64 exec, exec, s[14:15]
	v_cmp_gt_u64_e32 vcc, 57, v[0:1]
	s_lshl_b64 s[10:11], s[12:13], 12
	v_and_b32_e32 v8, 0xffffff1f, v8
	v_cndmask_b32_e32 v5, 0, v4, vcc
	v_lshl_add_u64 v[14:15], v[32:33], 0, s[10:11]
	v_lshl_add_u32 v32, v38, 2, 28
	v_or_b32_e32 v5, v8, v5
	v_and_or_b32 v8, v32, s17, v5
	v_readfirstlane_b32 s10, v14
	v_readfirstlane_b32 s11, v15
	s_nop 4
	global_store_dwordx4 v34, v[8:11], s[10:11]
	global_store_dwordx4 v34, v[18:21], s[10:11] offset:16
	global_store_dwordx4 v34, v[22:25], s[10:11] offset:32
	;; [unrolled: 1-line block ×3, first 2 shown]
	s_and_saveexec_b64 s[10:11], s[0:1]
	s_cbranch_execz .LBB4_102
; %bb.95:                               ;   in Loop: Header=BB4_30 Depth=1
	global_load_dwordx2 v[22:23], v35, s[2:3] offset:32 sc0 sc1
	global_load_dwordx2 v[8:9], v35, s[2:3] offset:40
	v_mov_b32_e32 v20, s6
	v_mov_b32_e32 v21, s7
	s_waitcnt vmcnt(0)
	v_readfirstlane_b32 s12, v8
	v_readfirstlane_b32 s13, v9
	s_and_b64 s[12:13], s[12:13], s[6:7]
	s_mul_i32 s13, s13, 24
	s_mul_hi_u32 s14, s12, 24
	s_mul_i32 s12, s12, 24
	s_add_i32 s13, s14, s13
	v_lshl_add_u64 v[18:19], v[30:31], 0, s[12:13]
	global_store_dwordx2 v[18:19], v[22:23], off
	buffer_wbl2 sc0 sc1
	s_waitcnt vmcnt(0)
	global_atomic_cmpswap_x2 v[10:11], v35, v[20:23], s[2:3] offset:32 sc0 sc1
	s_waitcnt vmcnt(0)
	v_cmp_ne_u64_e32 vcc, v[10:11], v[22:23]
	s_and_saveexec_b64 s[12:13], vcc
	s_cbranch_execz .LBB4_98
; %bb.96:                               ;   in Loop: Header=BB4_30 Depth=1
	s_mov_b64 s[14:15], 0
.LBB4_97:                               ;   Parent Loop BB4_30 Depth=1
                                        ; =>  This Inner Loop Header: Depth=2
	s_sleep 1
	global_store_dwordx2 v[18:19], v[10:11], off
	v_mov_b32_e32 v8, s6
	v_mov_b32_e32 v9, s7
	buffer_wbl2 sc0 sc1
	s_waitcnt vmcnt(0)
	global_atomic_cmpswap_x2 v[8:9], v35, v[8:11], s[2:3] offset:32 sc0 sc1
	s_waitcnt vmcnt(0)
	v_cmp_eq_u64_e32 vcc, v[8:9], v[10:11]
	s_or_b64 s[14:15], vcc, s[14:15]
	v_mov_b64_e32 v[10:11], v[8:9]
	s_andn2_b64 exec, exec, s[14:15]
	s_cbranch_execnz .LBB4_97
.LBB4_98:                               ;   in Loop: Header=BB4_30 Depth=1
	s_or_b64 exec, exec, s[12:13]
	global_load_dwordx2 v[8:9], v35, s[2:3] offset:16
	s_mov_b64 s[14:15], exec
	v_mbcnt_lo_u32_b32 v5, s14, 0
	v_mbcnt_hi_u32_b32 v5, s15, v5
	v_cmp_eq_u32_e32 vcc, 0, v5
	s_and_saveexec_b64 s[12:13], vcc
	s_cbranch_execz .LBB4_100
; %bb.99:                               ;   in Loop: Header=BB4_30 Depth=1
	s_bcnt1_i32_b64 s14, s[14:15]
	v_mov_b32_e32 v10, s14
	v_mov_b32_e32 v11, v35
	buffer_wbl2 sc0 sc1
	s_waitcnt vmcnt(0)
	global_atomic_add_x2 v[8:9], v[10:11], off offset:8 sc1
.LBB4_100:                              ;   in Loop: Header=BB4_30 Depth=1
	s_or_b64 exec, exec, s[12:13]
	s_waitcnt vmcnt(0)
	global_load_dwordx2 v[10:11], v[8:9], off offset:16
	s_waitcnt vmcnt(0)
	v_cmp_eq_u64_e32 vcc, 0, v[10:11]
	s_cbranch_vccnz .LBB4_102
; %bb.101:                              ;   in Loop: Header=BB4_30 Depth=1
	global_load_dword v8, v[8:9], off offset:24
	v_mov_b32_e32 v9, v35
	s_waitcnt vmcnt(0)
	v_readfirstlane_b32 s12, v8
	s_and_b32 m0, s12, 0xffffff
	buffer_wbl2 sc0 sc1
	global_store_dwordx2 v[10:11], v[8:9], off sc0 sc1
	s_sendmsg sendmsg(MSG_INTERRUPT)
.LBB4_102:                              ;   in Loop: Header=BB4_30 Depth=1
	s_or_b64 exec, exec, s[10:11]
	v_lshl_add_u64 v[8:9], v[14:15], 0, v[34:35]
	s_branch .LBB4_106
.LBB4_103:                              ;   in Loop: Header=BB4_106 Depth=2
	s_or_b64 exec, exec, s[10:11]
	v_readfirstlane_b32 s10, v5
	s_cmp_eq_u32 s10, 0
	s_cbranch_scc1 .LBB4_105
; %bb.104:                              ;   in Loop: Header=BB4_106 Depth=2
	s_sleep 1
	s_cbranch_execnz .LBB4_106
	s_branch .LBB4_108
.LBB4_105:                              ;   in Loop: Header=BB4_30 Depth=1
	s_branch .LBB4_108
.LBB4_106:                              ;   Parent Loop BB4_30 Depth=1
                                        ; =>  This Inner Loop Header: Depth=2
	v_mov_b32_e32 v5, 1
	s_and_saveexec_b64 s[10:11], s[0:1]
	s_cbranch_execz .LBB4_103
; %bb.107:                              ;   in Loop: Header=BB4_106 Depth=2
	global_load_dword v5, v[48:49], off offset:20 sc0 sc1
	s_waitcnt vmcnt(0)
	buffer_inv sc0 sc1
	v_and_b32_e32 v5, 1, v5
	s_branch .LBB4_103
.LBB4_108:                              ;   in Loop: Header=BB4_30 Depth=1
	global_load_dwordx2 v[8:9], v[8:9], off
	s_and_saveexec_b64 s[10:11], s[0:1]
	s_cbranch_execz .LBB4_29
; %bb.109:                              ;   in Loop: Header=BB4_30 Depth=1
	global_load_dwordx2 v[10:11], v35, s[2:3] offset:40
	global_load_dwordx2 v[22:23], v35, s[2:3] offset:24 sc0 sc1
	global_load_dwordx2 v[14:15], v35, s[2:3]
	s_waitcnt vmcnt(2)
	v_readfirstlane_b32 s12, v10
	v_readfirstlane_b32 s13, v11
	s_add_u32 s14, s12, 1
	s_addc_u32 s15, s13, 0
	s_add_u32 s0, s14, s6
	s_addc_u32 s1, s15, s7
	s_cmp_eq_u64 s[0:1], 0
	s_cselect_b32 s1, s15, s1
	s_cselect_b32 s0, s14, s0
	s_and_b64 s[6:7], s[0:1], s[12:13]
	s_mul_i32 s7, s7, 24
	s_mul_hi_u32 s12, s6, 24
	s_mul_i32 s6, s6, 24
	s_add_i32 s7, s12, s7
	s_waitcnt vmcnt(0)
	v_lshl_add_u64 v[10:11], v[14:15], 0, s[6:7]
	v_mov_b32_e32 v20, s0
	global_store_dwordx2 v[10:11], v[22:23], off
	v_mov_b32_e32 v21, s1
	buffer_wbl2 sc0 sc1
	s_waitcnt vmcnt(0)
	global_atomic_cmpswap_x2 v[20:21], v35, v[20:23], s[2:3] offset:24 sc0 sc1
	s_waitcnt vmcnt(0)
	v_cmp_ne_u64_e32 vcc, v[20:21], v[22:23]
	s_and_b64 exec, exec, vcc
	s_cbranch_execz .LBB4_29
; %bb.110:                              ;   in Loop: Header=BB4_30 Depth=1
	s_mov_b64 s[6:7], 0
.LBB4_111:                              ;   Parent Loop BB4_30 Depth=1
                                        ; =>  This Inner Loop Header: Depth=2
	s_sleep 1
	global_store_dwordx2 v[10:11], v[20:21], off
	v_mov_b32_e32 v18, s0
	v_mov_b32_e32 v19, s1
	buffer_wbl2 sc0 sc1
	s_waitcnt vmcnt(0)
	global_atomic_cmpswap_x2 v[14:15], v35, v[18:21], s[2:3] offset:24 sc0 sc1
	s_waitcnt vmcnt(0)
	v_cmp_eq_u64_e32 vcc, v[14:15], v[20:21]
	s_or_b64 s[6:7], vcc, s[6:7]
	v_mov_b64_e32 v[20:21], v[14:15]
	s_andn2_b64 exec, exec, s[6:7]
	s_cbranch_execnz .LBB4_111
	s_branch .LBB4_29
.LBB4_112:
                                        ; implicit-def: $vgpr8_vgpr9
	s_cbranch_execnz .LBB4_114
	s_branch .LBB4_140
.LBB4_113:
	s_or_b64 exec, exec, s[4:5]
	s_branch .LBB4_140
.LBB4_114:
	v_readfirstlane_b32 s0, v50
	v_mov_b64_e32 v[0:1], 0
	s_nop 0
	v_cmp_eq_u32_e64 s[0:1], s0, v50
	s_and_saveexec_b64 s[4:5], s[0:1]
	s_cbranch_execz .LBB4_120
; %bb.115:
	v_mov_b32_e32 v3, 0
	global_load_dwordx2 v[10:11], v3, s[2:3] offset:24 sc0 sc1
	s_waitcnt vmcnt(0)
	buffer_inv sc0 sc1
	global_load_dwordx2 v[0:1], v3, s[2:3] offset:40
	global_load_dwordx2 v[4:5], v3, s[2:3]
	s_waitcnt vmcnt(1)
	v_and_b32_e32 v0, v0, v10
	v_and_b32_e32 v1, v1, v11
	v_mul_lo_u32 v1, v1, 24
	v_mul_hi_u32 v8, v0, 24
	v_add_u32_e32 v1, v8, v1
	v_mul_lo_u32 v0, v0, 24
	s_waitcnt vmcnt(0)
	v_lshl_add_u64 v[0:1], v[4:5], 0, v[0:1]
	global_load_dwordx2 v[8:9], v[0:1], off sc0 sc1
	s_waitcnt vmcnt(0)
	global_atomic_cmpswap_x2 v[0:1], v3, v[8:11], s[2:3] offset:24 sc0 sc1
	s_waitcnt vmcnt(0)
	buffer_inv sc0 sc1
	v_cmp_ne_u64_e32 vcc, v[0:1], v[10:11]
	s_and_saveexec_b64 s[6:7], vcc
	s_cbranch_execz .LBB4_119
; %bb.116:
	s_mov_b64 s[10:11], 0
.LBB4_117:                              ; =>This Inner Loop Header: Depth=1
	s_sleep 1
	global_load_dwordx2 v[4:5], v3, s[2:3] offset:40
	global_load_dwordx2 v[8:9], v3, s[2:3]
	v_mov_b64_e32 v[10:11], v[0:1]
	s_waitcnt vmcnt(1)
	v_and_b32_e32 v0, v4, v10
	s_waitcnt vmcnt(0)
	v_mad_u64_u32 v[0:1], s[12:13], v0, 24, v[8:9]
	v_and_b32_e32 v5, v5, v11
	v_mov_b32_e32 v4, v1
	v_mad_u64_u32 v[4:5], s[12:13], v5, 24, v[4:5]
	v_mov_b32_e32 v1, v4
	global_load_dwordx2 v[8:9], v[0:1], off sc0 sc1
	s_waitcnt vmcnt(0)
	global_atomic_cmpswap_x2 v[0:1], v3, v[8:11], s[2:3] offset:24 sc0 sc1
	s_waitcnt vmcnt(0)
	buffer_inv sc0 sc1
	v_cmp_eq_u64_e32 vcc, v[0:1], v[10:11]
	s_or_b64 s[10:11], vcc, s[10:11]
	s_andn2_b64 exec, exec, s[10:11]
	s_cbranch_execnz .LBB4_117
; %bb.118:
	s_or_b64 exec, exec, s[10:11]
.LBB4_119:
	s_or_b64 exec, exec, s[6:7]
.LBB4_120:
	s_or_b64 exec, exec, s[4:5]
	v_mov_b32_e32 v35, 0
	global_load_dwordx2 v[4:5], v35, s[2:3] offset:40
	global_load_dwordx4 v[8:11], v35, s[2:3]
	v_readfirstlane_b32 s5, v1
	v_readfirstlane_b32 s4, v0
	s_mov_b64 s[6:7], exec
	s_waitcnt vmcnt(1)
	v_readfirstlane_b32 s10, v4
	v_readfirstlane_b32 s11, v5
	s_and_b64 s[10:11], s[10:11], s[4:5]
	s_mul_i32 s12, s11, 24
	s_mul_hi_u32 s13, s10, 24
	s_add_i32 s13, s13, s12
	s_mul_i32 s12, s10, 24
	s_waitcnt vmcnt(0)
	v_lshl_add_u64 v[0:1], v[8:9], 0, s[12:13]
	s_and_saveexec_b64 s[12:13], s[0:1]
	s_cbranch_execz .LBB4_122
; %bb.121:
	v_mov_b64_e32 v[14:15], s[6:7]
	v_mov_b32_e32 v16, 2
	v_mov_b32_e32 v17, 1
	global_store_dwordx4 v[0:1], v[14:17], off offset:8
.LBB4_122:
	s_or_b64 exec, exec, s[12:13]
	s_lshl_b64 s[6:7], s[10:11], 12
	v_lshl_add_u64 v[4:5], v[10:11], 0, s[6:7]
	s_movk_i32 s6, 0xff1f
	s_mov_b32 s12, 0
	v_and_or_b32 v12, v12, s6, 32
	v_mov_b32_e32 v14, v35
	v_mov_b32_e32 v15, v35
	v_readfirstlane_b32 s6, v4
	v_readfirstlane_b32 s7, v5
	s_mov_b32 s13, s12
	s_mov_b32 s14, s12
	;; [unrolled: 1-line block ×3, first 2 shown]
	s_nop 1
	global_store_dwordx4 v34, v[12:15], s[6:7]
	v_mov_b64_e32 v[10:11], s[12:13]
	s_nop 0
	v_mov_b64_e32 v[12:13], s[14:15]
	global_store_dwordx4 v34, v[10:13], s[6:7] offset:16
	global_store_dwordx4 v34, v[10:13], s[6:7] offset:32
	;; [unrolled: 1-line block ×3, first 2 shown]
	s_and_saveexec_b64 s[6:7], s[0:1]
	s_cbranch_execz .LBB4_130
; %bb.123:
	v_mov_b32_e32 v3, 0
	global_load_dwordx2 v[16:17], v3, s[2:3] offset:32 sc0 sc1
	global_load_dwordx2 v[10:11], v3, s[2:3] offset:40
	v_mov_b32_e32 v14, s4
	v_mov_b32_e32 v15, s5
	s_waitcnt vmcnt(0)
	v_readfirstlane_b32 s10, v10
	v_readfirstlane_b32 s11, v11
	s_and_b64 s[10:11], s[10:11], s[4:5]
	s_mul_i32 s11, s11, 24
	s_mul_hi_u32 s12, s10, 24
	s_mul_i32 s10, s10, 24
	s_add_i32 s11, s12, s11
	v_lshl_add_u64 v[12:13], v[8:9], 0, s[10:11]
	global_store_dwordx2 v[12:13], v[16:17], off
	buffer_wbl2 sc0 sc1
	s_waitcnt vmcnt(0)
	global_atomic_cmpswap_x2 v[10:11], v3, v[14:17], s[2:3] offset:32 sc0 sc1
	s_waitcnt vmcnt(0)
	v_cmp_ne_u64_e32 vcc, v[10:11], v[16:17]
	s_and_saveexec_b64 s[10:11], vcc
	s_cbranch_execz .LBB4_126
; %bb.124:
	s_mov_b64 s[12:13], 0
.LBB4_125:                              ; =>This Inner Loop Header: Depth=1
	s_sleep 1
	global_store_dwordx2 v[12:13], v[10:11], off
	v_mov_b32_e32 v8, s4
	v_mov_b32_e32 v9, s5
	buffer_wbl2 sc0 sc1
	s_waitcnt vmcnt(0)
	global_atomic_cmpswap_x2 v[8:9], v3, v[8:11], s[2:3] offset:32 sc0 sc1
	s_waitcnt vmcnt(0)
	v_cmp_eq_u64_e32 vcc, v[8:9], v[10:11]
	s_or_b64 s[12:13], vcc, s[12:13]
	v_mov_b64_e32 v[10:11], v[8:9]
	s_andn2_b64 exec, exec, s[12:13]
	s_cbranch_execnz .LBB4_125
.LBB4_126:
	s_or_b64 exec, exec, s[10:11]
	v_mov_b32_e32 v11, 0
	global_load_dwordx2 v[8:9], v11, s[2:3] offset:16
	s_mov_b64 s[10:11], exec
	v_mbcnt_lo_u32_b32 v3, s10, 0
	v_mbcnt_hi_u32_b32 v3, s11, v3
	v_cmp_eq_u32_e32 vcc, 0, v3
	s_and_saveexec_b64 s[12:13], vcc
	s_cbranch_execz .LBB4_128
; %bb.127:
	s_bcnt1_i32_b64 s10, s[10:11]
	v_mov_b32_e32 v10, s10
	buffer_wbl2 sc0 sc1
	s_waitcnt vmcnt(0)
	global_atomic_add_x2 v[8:9], v[10:11], off offset:8 sc1
.LBB4_128:
	s_or_b64 exec, exec, s[12:13]
	s_waitcnt vmcnt(0)
	global_load_dwordx2 v[10:11], v[8:9], off offset:16
	s_waitcnt vmcnt(0)
	v_cmp_eq_u64_e32 vcc, 0, v[10:11]
	s_cbranch_vccnz .LBB4_130
; %bb.129:
	global_load_dword v8, v[8:9], off offset:24
	v_mov_b32_e32 v9, 0
	s_waitcnt vmcnt(0)
	v_readfirstlane_b32 s10, v8
	s_and_b32 m0, s10, 0xffffff
	buffer_wbl2 sc0 sc1
	global_store_dwordx2 v[10:11], v[8:9], off sc0 sc1
	s_sendmsg sendmsg(MSG_INTERRUPT)
.LBB4_130:
	s_or_b64 exec, exec, s[6:7]
	v_lshl_add_u64 v[4:5], v[4:5], 0, v[34:35]
	s_branch .LBB4_134
.LBB4_131:                              ;   in Loop: Header=BB4_134 Depth=1
	s_or_b64 exec, exec, s[6:7]
	v_readfirstlane_b32 s6, v3
	s_cmp_eq_u32 s6, 0
	s_cbranch_scc1 .LBB4_133
; %bb.132:                              ;   in Loop: Header=BB4_134 Depth=1
	s_sleep 1
	s_cbranch_execnz .LBB4_134
	s_branch .LBB4_136
.LBB4_133:
	s_branch .LBB4_136
.LBB4_134:                              ; =>This Inner Loop Header: Depth=1
	v_mov_b32_e32 v3, 1
	s_and_saveexec_b64 s[6:7], s[0:1]
	s_cbranch_execz .LBB4_131
; %bb.135:                              ;   in Loop: Header=BB4_134 Depth=1
	global_load_dword v3, v[0:1], off offset:20 sc0 sc1
	s_waitcnt vmcnt(0)
	buffer_inv sc0 sc1
	v_and_b32_e32 v3, 1, v3
	s_branch .LBB4_131
.LBB4_136:
	global_load_dwordx2 v[8:9], v[4:5], off
	s_and_saveexec_b64 s[6:7], s[0:1]
	s_cbranch_execz .LBB4_139
; %bb.137:
	v_mov_b32_e32 v3, 0
	global_load_dwordx2 v[0:1], v3, s[2:3] offset:40
	global_load_dwordx2 v[14:15], v3, s[2:3] offset:24 sc0 sc1
	global_load_dwordx2 v[4:5], v3, s[2:3]
	s_waitcnt vmcnt(2)
	v_readfirstlane_b32 s10, v0
	v_readfirstlane_b32 s11, v1
	s_add_u32 s12, s10, 1
	s_addc_u32 s13, s11, 0
	s_add_u32 s0, s12, s4
	s_addc_u32 s1, s13, s5
	s_cmp_eq_u64 s[0:1], 0
	s_cselect_b32 s1, s13, s1
	s_cselect_b32 s0, s12, s0
	s_and_b64 s[4:5], s[0:1], s[10:11]
	s_mul_i32 s5, s5, 24
	s_mul_hi_u32 s10, s4, 24
	s_mul_i32 s4, s4, 24
	s_add_i32 s5, s10, s5
	s_waitcnt vmcnt(0)
	v_lshl_add_u64 v[0:1], v[4:5], 0, s[4:5]
	v_mov_b32_e32 v12, s0
	global_store_dwordx2 v[0:1], v[14:15], off
	v_mov_b32_e32 v13, s1
	buffer_wbl2 sc0 sc1
	s_waitcnt vmcnt(0)
	global_atomic_cmpswap_x2 v[12:13], v3, v[12:15], s[2:3] offset:24 sc0 sc1
	s_mov_b64 s[4:5], 0
	s_waitcnt vmcnt(0)
	v_cmp_ne_u64_e32 vcc, v[12:13], v[14:15]
	s_and_b64 exec, exec, vcc
	s_cbranch_execz .LBB4_139
.LBB4_138:                              ; =>This Inner Loop Header: Depth=1
	s_sleep 1
	global_store_dwordx2 v[0:1], v[12:13], off
	v_mov_b32_e32 v10, s0
	v_mov_b32_e32 v11, s1
	buffer_wbl2 sc0 sc1
	s_waitcnt vmcnt(0)
	global_atomic_cmpswap_x2 v[4:5], v3, v[10:13], s[2:3] offset:24 sc0 sc1
	s_waitcnt vmcnt(0)
	v_cmp_eq_u64_e32 vcc, v[4:5], v[12:13]
	s_or_b64 s[4:5], vcc, s[4:5]
	v_mov_b64_e32 v[12:13], v[4:5]
	s_andn2_b64 exec, exec, s[4:5]
	s_cbranch_execnz .LBB4_138
.LBB4_139:
	s_or_b64 exec, exec, s[6:7]
.LBB4_140:
	s_getpc_b64 s[4:5]
	s_add_u32 s4, s4, .str.1@rel32@lo+4
	s_addc_u32 s5, s5, .str.1@rel32@hi+12
	s_cmp_lg_u64 s[4:5], 0
	s_cbranch_scc0 .LBB4_225
; %bb.141:
	s_getpc_b64 s[0:1]
	s_add_u32 s0, s0, .str.1@rel32@lo+88
	s_addc_u32 s1, s1, .str.1@rel32@hi+96
	s_sub_i32 s6, s0, s4
	s_ashr_i32 s7, s6, 31
	s_waitcnt vmcnt(0)
	v_and_b32_e32 v0, 2, v8
	v_mov_b32_e32 v5, 0
	v_and_b32_e32 v10, -3, v8
	v_mov_b32_e32 v11, v9
	v_mov_b32_e32 v16, 2
	;; [unrolled: 1-line block ×3, first 2 shown]
	s_branch .LBB4_143
.LBB4_142:                              ;   in Loop: Header=BB4_143 Depth=1
	s_or_b64 exec, exec, s[14:15]
	s_sub_u32 s6, s6, s10
	s_subb_u32 s7, s7, s11
	s_add_u32 s4, s4, s10
	s_addc_u32 s5, s5, s11
	s_cmp_lg_u64 s[6:7], 0
	s_cbranch_scc0 .LBB4_226
.LBB4_143:                              ; =>This Loop Header: Depth=1
                                        ;     Child Loop BB4_146 Depth 2
                                        ;     Child Loop BB4_154 Depth 2
	;; [unrolled: 1-line block ×11, first 2 shown]
	v_cmp_lt_u64_e64 s[0:1], s[6:7], 56
	s_and_b64 s[0:1], s[0:1], exec
	s_cselect_b32 s11, s7, 0
	s_cselect_b32 s10, s6, 56
	v_cmp_gt_u64_e64 s[12:13], s[6:7], 7
	s_add_u32 s0, s4, 8
	s_addc_u32 s1, s5, 0
	s_and_b64 vcc, exec, s[12:13]
	s_cbranch_vccnz .LBB4_147
; %bb.144:                              ;   in Loop: Header=BB4_143 Depth=1
	s_cmp_eq_u64 s[6:7], 0
	s_cbranch_scc1 .LBB4_148
; %bb.145:                              ;   in Loop: Header=BB4_143 Depth=1
	s_lshl_b64 s[0:1], s[10:11], 3
	s_mov_b64 s[12:13], 0
	v_mov_b64_e32 v[12:13], 0
	s_mov_b64 s[14:15], s[4:5]
.LBB4_146:                              ;   Parent Loop BB4_143 Depth=1
                                        ; =>  This Inner Loop Header: Depth=2
	global_load_ubyte v1, v5, s[14:15]
	s_waitcnt vmcnt(0)
	v_and_b32_e32 v4, 0xffff, v1
	v_lshlrev_b64 v[14:15], s12, v[4:5]
	s_add_u32 s12, s12, 8
	s_addc_u32 s13, s13, 0
	s_add_u32 s14, s14, 1
	s_addc_u32 s15, s15, 0
	v_or_b32_e32 v12, v14, v12
	s_cmp_lg_u32 s0, s12
	v_or_b32_e32 v13, v15, v13
	s_cbranch_scc1 .LBB4_146
	s_branch .LBB4_149
.LBB4_147:                              ;   in Loop: Header=BB4_143 Depth=1
	s_mov_b32 s16, 0
	s_branch .LBB4_150
.LBB4_148:                              ;   in Loop: Header=BB4_143 Depth=1
	v_mov_b64_e32 v[12:13], 0
.LBB4_149:                              ;   in Loop: Header=BB4_143 Depth=1
	s_mov_b64 s[0:1], s[4:5]
	s_mov_b32 s16, 0
	s_cbranch_execnz .LBB4_151
.LBB4_150:                              ;   in Loop: Header=BB4_143 Depth=1
	global_load_dwordx2 v[12:13], v5, s[4:5]
	s_add_i32 s16, s10, -8
.LBB4_151:                              ;   in Loop: Header=BB4_143 Depth=1
	s_add_u32 s12, s0, 8
	s_addc_u32 s13, s1, 0
	s_cmp_gt_u32 s16, 7
	s_cbranch_scc1 .LBB4_155
; %bb.152:                              ;   in Loop: Header=BB4_143 Depth=1
	s_cmp_eq_u32 s16, 0
	s_cbranch_scc1 .LBB4_156
; %bb.153:                              ;   in Loop: Header=BB4_143 Depth=1
	s_mov_b64 s[12:13], 0
	v_mov_b64_e32 v[18:19], 0
	s_mov_b64 s[14:15], 0
.LBB4_154:                              ;   Parent Loop BB4_143 Depth=1
                                        ; =>  This Inner Loop Header: Depth=2
	s_add_u32 s18, s0, s14
	s_addc_u32 s19, s1, s15
	global_load_ubyte v1, v5, s[18:19]
	s_add_u32 s14, s14, 1
	s_addc_u32 s15, s15, 0
	s_waitcnt vmcnt(0)
	v_and_b32_e32 v4, 0xffff, v1
	v_lshlrev_b64 v[14:15], s12, v[4:5]
	s_add_u32 s12, s12, 8
	s_addc_u32 s13, s13, 0
	v_or_b32_e32 v18, v14, v18
	s_cmp_lg_u32 s16, s14
	v_or_b32_e32 v19, v15, v19
	s_cbranch_scc1 .LBB4_154
	s_branch .LBB4_157
.LBB4_155:                              ;   in Loop: Header=BB4_143 Depth=1
                                        ; implicit-def: $vgpr18_vgpr19
	s_mov_b32 s17, 0
	s_branch .LBB4_158
.LBB4_156:                              ;   in Loop: Header=BB4_143 Depth=1
	v_mov_b64_e32 v[18:19], 0
.LBB4_157:                              ;   in Loop: Header=BB4_143 Depth=1
	s_mov_b64 s[12:13], s[0:1]
	s_mov_b32 s17, 0
	s_cbranch_execnz .LBB4_159
.LBB4_158:                              ;   in Loop: Header=BB4_143 Depth=1
	global_load_dwordx2 v[18:19], v5, s[0:1]
	s_add_i32 s17, s16, -8
.LBB4_159:                              ;   in Loop: Header=BB4_143 Depth=1
	s_add_u32 s0, s12, 8
	s_addc_u32 s1, s13, 0
	s_cmp_gt_u32 s17, 7
	s_cbranch_scc1 .LBB4_163
; %bb.160:                              ;   in Loop: Header=BB4_143 Depth=1
	s_cmp_eq_u32 s17, 0
	s_cbranch_scc1 .LBB4_164
; %bb.161:                              ;   in Loop: Header=BB4_143 Depth=1
	s_mov_b64 s[0:1], 0
	v_mov_b64_e32 v[20:21], 0
	s_mov_b64 s[14:15], 0
.LBB4_162:                              ;   Parent Loop BB4_143 Depth=1
                                        ; =>  This Inner Loop Header: Depth=2
	s_add_u32 s18, s12, s14
	s_addc_u32 s19, s13, s15
	global_load_ubyte v1, v5, s[18:19]
	s_add_u32 s14, s14, 1
	s_addc_u32 s15, s15, 0
	s_waitcnt vmcnt(0)
	v_and_b32_e32 v4, 0xffff, v1
	v_lshlrev_b64 v[14:15], s0, v[4:5]
	s_add_u32 s0, s0, 8
	s_addc_u32 s1, s1, 0
	v_or_b32_e32 v20, v14, v20
	s_cmp_lg_u32 s17, s14
	v_or_b32_e32 v21, v15, v21
	s_cbranch_scc1 .LBB4_162
	s_branch .LBB4_165
.LBB4_163:                              ;   in Loop: Header=BB4_143 Depth=1
	s_mov_b32 s16, 0
	s_branch .LBB4_166
.LBB4_164:                              ;   in Loop: Header=BB4_143 Depth=1
	v_mov_b64_e32 v[20:21], 0
.LBB4_165:                              ;   in Loop: Header=BB4_143 Depth=1
	s_mov_b64 s[0:1], s[12:13]
	s_mov_b32 s16, 0
	s_cbranch_execnz .LBB4_167
.LBB4_166:                              ;   in Loop: Header=BB4_143 Depth=1
	global_load_dwordx2 v[20:21], v5, s[12:13]
	s_add_i32 s16, s17, -8
.LBB4_167:                              ;   in Loop: Header=BB4_143 Depth=1
	s_add_u32 s12, s0, 8
	s_addc_u32 s13, s1, 0
	s_cmp_gt_u32 s16, 7
	s_cbranch_scc1 .LBB4_171
; %bb.168:                              ;   in Loop: Header=BB4_143 Depth=1
	s_cmp_eq_u32 s16, 0
	s_cbranch_scc1 .LBB4_172
; %bb.169:                              ;   in Loop: Header=BB4_143 Depth=1
	s_mov_b64 s[12:13], 0
	v_mov_b64_e32 v[22:23], 0
	s_mov_b64 s[14:15], 0
.LBB4_170:                              ;   Parent Loop BB4_143 Depth=1
                                        ; =>  This Inner Loop Header: Depth=2
	s_add_u32 s18, s0, s14
	s_addc_u32 s19, s1, s15
	global_load_ubyte v1, v5, s[18:19]
	s_add_u32 s14, s14, 1
	s_addc_u32 s15, s15, 0
	s_waitcnt vmcnt(0)
	v_and_b32_e32 v4, 0xffff, v1
	v_lshlrev_b64 v[14:15], s12, v[4:5]
	s_add_u32 s12, s12, 8
	s_addc_u32 s13, s13, 0
	v_or_b32_e32 v22, v14, v22
	s_cmp_lg_u32 s16, s14
	v_or_b32_e32 v23, v15, v23
	s_cbranch_scc1 .LBB4_170
	s_branch .LBB4_173
.LBB4_171:                              ;   in Loop: Header=BB4_143 Depth=1
                                        ; implicit-def: $vgpr22_vgpr23
	s_mov_b32 s17, 0
	s_branch .LBB4_174
.LBB4_172:                              ;   in Loop: Header=BB4_143 Depth=1
	v_mov_b64_e32 v[22:23], 0
.LBB4_173:                              ;   in Loop: Header=BB4_143 Depth=1
	s_mov_b64 s[12:13], s[0:1]
	s_mov_b32 s17, 0
	s_cbranch_execnz .LBB4_175
.LBB4_174:                              ;   in Loop: Header=BB4_143 Depth=1
	global_load_dwordx2 v[22:23], v5, s[0:1]
	s_add_i32 s17, s16, -8
.LBB4_175:                              ;   in Loop: Header=BB4_143 Depth=1
	s_add_u32 s0, s12, 8
	s_addc_u32 s1, s13, 0
	s_cmp_gt_u32 s17, 7
	s_cbranch_scc1 .LBB4_179
; %bb.176:                              ;   in Loop: Header=BB4_143 Depth=1
	s_cmp_eq_u32 s17, 0
	s_cbranch_scc1 .LBB4_180
; %bb.177:                              ;   in Loop: Header=BB4_143 Depth=1
	s_mov_b64 s[0:1], 0
	v_mov_b64_e32 v[24:25], 0
	s_mov_b64 s[14:15], 0
.LBB4_178:                              ;   Parent Loop BB4_143 Depth=1
                                        ; =>  This Inner Loop Header: Depth=2
	s_add_u32 s18, s12, s14
	s_addc_u32 s19, s13, s15
	global_load_ubyte v1, v5, s[18:19]
	s_add_u32 s14, s14, 1
	s_addc_u32 s15, s15, 0
	s_waitcnt vmcnt(0)
	v_and_b32_e32 v4, 0xffff, v1
	v_lshlrev_b64 v[14:15], s0, v[4:5]
	s_add_u32 s0, s0, 8
	s_addc_u32 s1, s1, 0
	v_or_b32_e32 v24, v14, v24
	s_cmp_lg_u32 s17, s14
	v_or_b32_e32 v25, v15, v25
	s_cbranch_scc1 .LBB4_178
	s_branch .LBB4_181
.LBB4_179:                              ;   in Loop: Header=BB4_143 Depth=1
	s_mov_b32 s16, 0
	s_branch .LBB4_182
.LBB4_180:                              ;   in Loop: Header=BB4_143 Depth=1
	v_mov_b64_e32 v[24:25], 0
.LBB4_181:                              ;   in Loop: Header=BB4_143 Depth=1
	s_mov_b64 s[0:1], s[12:13]
	s_mov_b32 s16, 0
	s_cbranch_execnz .LBB4_183
.LBB4_182:                              ;   in Loop: Header=BB4_143 Depth=1
	global_load_dwordx2 v[24:25], v5, s[12:13]
	s_add_i32 s16, s17, -8
.LBB4_183:                              ;   in Loop: Header=BB4_143 Depth=1
	s_add_u32 s12, s0, 8
	s_addc_u32 s13, s1, 0
	s_cmp_gt_u32 s16, 7
	s_cbranch_scc1 .LBB4_187
; %bb.184:                              ;   in Loop: Header=BB4_143 Depth=1
	s_cmp_eq_u32 s16, 0
	s_cbranch_scc1 .LBB4_188
; %bb.185:                              ;   in Loop: Header=BB4_143 Depth=1
	s_mov_b64 s[12:13], 0
	v_mov_b64_e32 v[26:27], 0
	s_mov_b64 s[14:15], 0
.LBB4_186:                              ;   Parent Loop BB4_143 Depth=1
                                        ; =>  This Inner Loop Header: Depth=2
	s_add_u32 s18, s0, s14
	s_addc_u32 s19, s1, s15
	global_load_ubyte v1, v5, s[18:19]
	s_add_u32 s14, s14, 1
	s_addc_u32 s15, s15, 0
	s_waitcnt vmcnt(0)
	v_and_b32_e32 v4, 0xffff, v1
	v_lshlrev_b64 v[14:15], s12, v[4:5]
	s_add_u32 s12, s12, 8
	s_addc_u32 s13, s13, 0
	v_or_b32_e32 v26, v14, v26
	s_cmp_lg_u32 s16, s14
	v_or_b32_e32 v27, v15, v27
	s_cbranch_scc1 .LBB4_186
	s_branch .LBB4_189
.LBB4_187:                              ;   in Loop: Header=BB4_143 Depth=1
                                        ; implicit-def: $vgpr26_vgpr27
	s_mov_b32 s17, 0
	s_branch .LBB4_190
.LBB4_188:                              ;   in Loop: Header=BB4_143 Depth=1
	v_mov_b64_e32 v[26:27], 0
.LBB4_189:                              ;   in Loop: Header=BB4_143 Depth=1
	s_mov_b64 s[12:13], s[0:1]
	s_mov_b32 s17, 0
	s_cbranch_execnz .LBB4_191
.LBB4_190:                              ;   in Loop: Header=BB4_143 Depth=1
	global_load_dwordx2 v[26:27], v5, s[0:1]
	s_add_i32 s17, s16, -8
.LBB4_191:                              ;   in Loop: Header=BB4_143 Depth=1
	s_cmp_gt_u32 s17, 7
	s_cbranch_scc1 .LBB4_195
; %bb.192:                              ;   in Loop: Header=BB4_143 Depth=1
	s_cmp_eq_u32 s17, 0
	s_cbranch_scc1 .LBB4_196
; %bb.193:                              ;   in Loop: Header=BB4_143 Depth=1
	s_mov_b64 s[0:1], 0
	v_mov_b64_e32 v[28:29], 0
	s_mov_b64 s[14:15], s[12:13]
.LBB4_194:                              ;   Parent Loop BB4_143 Depth=1
                                        ; =>  This Inner Loop Header: Depth=2
	global_load_ubyte v1, v5, s[14:15]
	s_add_i32 s17, s17, -1
	s_waitcnt vmcnt(0)
	v_and_b32_e32 v4, 0xffff, v1
	v_lshlrev_b64 v[14:15], s0, v[4:5]
	s_add_u32 s0, s0, 8
	s_addc_u32 s1, s1, 0
	s_add_u32 s14, s14, 1
	s_addc_u32 s15, s15, 0
	v_or_b32_e32 v28, v14, v28
	s_cmp_lg_u32 s17, 0
	v_or_b32_e32 v29, v15, v29
	s_cbranch_scc1 .LBB4_194
	s_branch .LBB4_197
.LBB4_195:                              ;   in Loop: Header=BB4_143 Depth=1
	s_branch .LBB4_198
.LBB4_196:                              ;   in Loop: Header=BB4_143 Depth=1
	v_mov_b64_e32 v[28:29], 0
.LBB4_197:                              ;   in Loop: Header=BB4_143 Depth=1
	s_cbranch_execnz .LBB4_199
.LBB4_198:                              ;   in Loop: Header=BB4_143 Depth=1
	global_load_dwordx2 v[28:29], v5, s[12:13]
.LBB4_199:                              ;   in Loop: Header=BB4_143 Depth=1
	v_readfirstlane_b32 s0, v50
	v_mov_b64_e32 v[14:15], 0
	s_nop 0
	v_cmp_eq_u32_e64 s[0:1], s0, v50
	s_and_saveexec_b64 s[12:13], s[0:1]
	s_cbranch_execz .LBB4_205
; %bb.200:                              ;   in Loop: Header=BB4_143 Depth=1
	global_load_dwordx2 v[32:33], v5, s[2:3] offset:24 sc0 sc1
	s_waitcnt vmcnt(0)
	buffer_inv sc0 sc1
	global_load_dwordx2 v[14:15], v5, s[2:3] offset:40
	global_load_dwordx2 v[30:31], v5, s[2:3]
	s_waitcnt vmcnt(1)
	v_and_b32_e32 v1, v14, v32
	v_and_b32_e32 v3, v15, v33
	v_mul_lo_u32 v3, v3, 24
	v_mul_hi_u32 v4, v1, 24
	v_add_u32_e32 v15, v4, v3
	v_mul_lo_u32 v14, v1, 24
	s_waitcnt vmcnt(0)
	v_lshl_add_u64 v[14:15], v[30:31], 0, v[14:15]
	global_load_dwordx2 v[30:31], v[14:15], off sc0 sc1
	s_waitcnt vmcnt(0)
	global_atomic_cmpswap_x2 v[14:15], v5, v[30:33], s[2:3] offset:24 sc0 sc1
	s_waitcnt vmcnt(0)
	buffer_inv sc0 sc1
	v_cmp_ne_u64_e32 vcc, v[14:15], v[32:33]
	s_and_saveexec_b64 s[14:15], vcc
	s_cbranch_execz .LBB4_204
; %bb.201:                              ;   in Loop: Header=BB4_143 Depth=1
	s_mov_b64 s[16:17], 0
.LBB4_202:                              ;   Parent Loop BB4_143 Depth=1
                                        ; =>  This Inner Loop Header: Depth=2
	s_sleep 1
	global_load_dwordx2 v[30:31], v5, s[2:3] offset:40
	global_load_dwordx2 v[38:39], v5, s[2:3]
	v_mov_b64_e32 v[32:33], v[14:15]
	s_waitcnt vmcnt(1)
	v_and_b32_e32 v3, v30, v32
	s_waitcnt vmcnt(0)
	v_mad_u64_u32 v[14:15], s[18:19], v3, 24, v[38:39]
	v_and_b32_e32 v1, v31, v33
	v_mov_b32_e32 v4, v15
	v_mad_u64_u32 v[30:31], s[18:19], v1, 24, v[4:5]
	v_mov_b32_e32 v15, v30
	global_load_dwordx2 v[30:31], v[14:15], off sc0 sc1
	s_waitcnt vmcnt(0)
	global_atomic_cmpswap_x2 v[14:15], v5, v[30:33], s[2:3] offset:24 sc0 sc1
	s_waitcnt vmcnt(0)
	buffer_inv sc0 sc1
	v_cmp_eq_u64_e32 vcc, v[14:15], v[32:33]
	s_or_b64 s[16:17], vcc, s[16:17]
	s_andn2_b64 exec, exec, s[16:17]
	s_cbranch_execnz .LBB4_202
; %bb.203:                              ;   in Loop: Header=BB4_143 Depth=1
	s_or_b64 exec, exec, s[16:17]
.LBB4_204:                              ;   in Loop: Header=BB4_143 Depth=1
	s_or_b64 exec, exec, s[14:15]
.LBB4_205:                              ;   in Loop: Header=BB4_143 Depth=1
	s_or_b64 exec, exec, s[12:13]
	global_load_dwordx2 v[38:39], v5, s[2:3] offset:40
	global_load_dwordx4 v[30:33], v5, s[2:3]
	v_readfirstlane_b32 s13, v15
	v_readfirstlane_b32 s12, v14
	s_mov_b64 s[14:15], exec
	s_waitcnt vmcnt(1)
	v_readfirstlane_b32 s16, v38
	v_readfirstlane_b32 s17, v39
	s_and_b64 s[16:17], s[16:17], s[12:13]
	s_mul_i32 s18, s17, 24
	s_mul_hi_u32 s19, s16, 24
	s_add_i32 s19, s19, s18
	s_mul_i32 s18, s16, 24
	s_waitcnt vmcnt(0)
	v_lshl_add_u64 v[38:39], v[30:31], 0, s[18:19]
	s_and_saveexec_b64 s[18:19], s[0:1]
	s_cbranch_execz .LBB4_207
; %bb.206:                              ;   in Loop: Header=BB4_143 Depth=1
	v_mov_b64_e32 v[14:15], s[14:15]
	global_store_dwordx4 v[38:39], v[14:17], off offset:8
.LBB4_207:                              ;   in Loop: Header=BB4_143 Depth=1
	s_or_b64 exec, exec, s[18:19]
	s_lshl_b64 s[14:15], s[16:17], 12
	v_lshl_add_u64 v[14:15], v[32:33], 0, s[14:15]
	v_cmp_lt_u64_e64 vcc, s[6:7], 57
	s_lshl_b32 s14, s10, 2
	s_add_i32 s14, s14, 28
	v_cndmask_b32_e32 v1, 0, v0, vcc
	v_and_b32_e32 v3, 0xffffff1f, v10
	s_and_b32 s14, s14, 0x1e0
	v_or_b32_e32 v1, v3, v1
	v_or_b32_e32 v10, s14, v1
	v_readfirstlane_b32 s14, v14
	v_readfirstlane_b32 s15, v15
	s_nop 4
	global_store_dwordx4 v34, v[10:13], s[14:15]
	global_store_dwordx4 v34, v[18:21], s[14:15] offset:16
	global_store_dwordx4 v34, v[22:25], s[14:15] offset:32
	;; [unrolled: 1-line block ×3, first 2 shown]
	s_and_saveexec_b64 s[14:15], s[0:1]
	s_cbranch_execz .LBB4_215
; %bb.208:                              ;   in Loop: Header=BB4_143 Depth=1
	global_load_dwordx2 v[22:23], v5, s[2:3] offset:32 sc0 sc1
	global_load_dwordx2 v[10:11], v5, s[2:3] offset:40
	v_mov_b32_e32 v20, s12
	v_mov_b32_e32 v21, s13
	s_waitcnt vmcnt(0)
	v_readfirstlane_b32 s16, v10
	v_readfirstlane_b32 s17, v11
	s_and_b64 s[16:17], s[16:17], s[12:13]
	s_mul_i32 s17, s17, 24
	s_mul_hi_u32 s18, s16, 24
	s_mul_i32 s16, s16, 24
	s_add_i32 s17, s18, s17
	v_lshl_add_u64 v[18:19], v[30:31], 0, s[16:17]
	global_store_dwordx2 v[18:19], v[22:23], off
	buffer_wbl2 sc0 sc1
	s_waitcnt vmcnt(0)
	global_atomic_cmpswap_x2 v[12:13], v5, v[20:23], s[2:3] offset:32 sc0 sc1
	s_waitcnt vmcnt(0)
	v_cmp_ne_u64_e32 vcc, v[12:13], v[22:23]
	s_and_saveexec_b64 s[16:17], vcc
	s_cbranch_execz .LBB4_211
; %bb.209:                              ;   in Loop: Header=BB4_143 Depth=1
	s_mov_b64 s[18:19], 0
.LBB4_210:                              ;   Parent Loop BB4_143 Depth=1
                                        ; =>  This Inner Loop Header: Depth=2
	s_sleep 1
	global_store_dwordx2 v[18:19], v[12:13], off
	v_mov_b32_e32 v10, s12
	v_mov_b32_e32 v11, s13
	buffer_wbl2 sc0 sc1
	s_waitcnt vmcnt(0)
	global_atomic_cmpswap_x2 v[10:11], v5, v[10:13], s[2:3] offset:32 sc0 sc1
	s_waitcnt vmcnt(0)
	v_cmp_eq_u64_e32 vcc, v[10:11], v[12:13]
	s_or_b64 s[18:19], vcc, s[18:19]
	v_mov_b64_e32 v[12:13], v[10:11]
	s_andn2_b64 exec, exec, s[18:19]
	s_cbranch_execnz .LBB4_210
.LBB4_211:                              ;   in Loop: Header=BB4_143 Depth=1
	s_or_b64 exec, exec, s[16:17]
	global_load_dwordx2 v[10:11], v5, s[2:3] offset:16
	s_mov_b64 s[18:19], exec
	v_mbcnt_lo_u32_b32 v1, s18, 0
	v_mbcnt_hi_u32_b32 v1, s19, v1
	v_cmp_eq_u32_e32 vcc, 0, v1
	s_and_saveexec_b64 s[16:17], vcc
	s_cbranch_execz .LBB4_213
; %bb.212:                              ;   in Loop: Header=BB4_143 Depth=1
	s_bcnt1_i32_b64 s18, s[18:19]
	v_mov_b32_e32 v4, s18
	buffer_wbl2 sc0 sc1
	s_waitcnt vmcnt(0)
	global_atomic_add_x2 v[10:11], v[4:5], off offset:8 sc1
.LBB4_213:                              ;   in Loop: Header=BB4_143 Depth=1
	s_or_b64 exec, exec, s[16:17]
	s_waitcnt vmcnt(0)
	global_load_dwordx2 v[12:13], v[10:11], off offset:16
	s_waitcnt vmcnt(0)
	v_cmp_eq_u64_e32 vcc, 0, v[12:13]
	s_cbranch_vccnz .LBB4_215
; %bb.214:                              ;   in Loop: Header=BB4_143 Depth=1
	global_load_dword v4, v[10:11], off offset:24
	s_waitcnt vmcnt(0)
	v_readfirstlane_b32 s16, v4
	s_and_b32 m0, s16, 0xffffff
	buffer_wbl2 sc0 sc1
	global_store_dwordx2 v[12:13], v[4:5], off sc0 sc1
	s_sendmsg sendmsg(MSG_INTERRUPT)
.LBB4_215:                              ;   in Loop: Header=BB4_143 Depth=1
	s_or_b64 exec, exec, s[14:15]
	v_mov_b32_e32 v35, v5
	v_lshl_add_u64 v[10:11], v[14:15], 0, v[34:35]
	s_branch .LBB4_219
.LBB4_216:                              ;   in Loop: Header=BB4_219 Depth=2
	s_or_b64 exec, exec, s[14:15]
	v_readfirstlane_b32 s14, v1
	s_cmp_eq_u32 s14, 0
	s_cbranch_scc1 .LBB4_218
; %bb.217:                              ;   in Loop: Header=BB4_219 Depth=2
	s_sleep 1
	s_cbranch_execnz .LBB4_219
	s_branch .LBB4_221
.LBB4_218:                              ;   in Loop: Header=BB4_143 Depth=1
	s_branch .LBB4_221
.LBB4_219:                              ;   Parent Loop BB4_143 Depth=1
                                        ; =>  This Inner Loop Header: Depth=2
	v_mov_b32_e32 v1, 1
	s_and_saveexec_b64 s[14:15], s[0:1]
	s_cbranch_execz .LBB4_216
; %bb.220:                              ;   in Loop: Header=BB4_219 Depth=2
	global_load_dword v1, v[38:39], off offset:20 sc0 sc1
	s_waitcnt vmcnt(0)
	buffer_inv sc0 sc1
	v_and_b32_e32 v1, 1, v1
	s_branch .LBB4_216
.LBB4_221:                              ;   in Loop: Header=BB4_143 Depth=1
	global_load_dwordx2 v[10:11], v[10:11], off
	s_and_saveexec_b64 s[14:15], s[0:1]
	s_cbranch_execz .LBB4_142
; %bb.222:                              ;   in Loop: Header=BB4_143 Depth=1
	global_load_dwordx2 v[12:13], v5, s[2:3] offset:40
	global_load_dwordx2 v[22:23], v5, s[2:3] offset:24 sc0 sc1
	global_load_dwordx2 v[14:15], v5, s[2:3]
	s_waitcnt vmcnt(2)
	v_readfirstlane_b32 s16, v12
	v_readfirstlane_b32 s17, v13
	s_add_u32 s18, s16, 1
	s_addc_u32 s19, s17, 0
	s_add_u32 s0, s18, s12
	s_addc_u32 s1, s19, s13
	s_cmp_eq_u64 s[0:1], 0
	s_cselect_b32 s1, s19, s1
	s_cselect_b32 s0, s18, s0
	s_and_b64 s[12:13], s[0:1], s[16:17]
	s_mul_i32 s13, s13, 24
	s_mul_hi_u32 s16, s12, 24
	s_mul_i32 s12, s12, 24
	s_add_i32 s13, s16, s13
	s_waitcnt vmcnt(0)
	v_lshl_add_u64 v[18:19], v[14:15], 0, s[12:13]
	v_mov_b32_e32 v20, s0
	global_store_dwordx2 v[18:19], v[22:23], off
	v_mov_b32_e32 v21, s1
	buffer_wbl2 sc0 sc1
	s_waitcnt vmcnt(0)
	global_atomic_cmpswap_x2 v[14:15], v5, v[20:23], s[2:3] offset:24 sc0 sc1
	s_waitcnt vmcnt(0)
	v_cmp_ne_u64_e32 vcc, v[14:15], v[22:23]
	s_and_b64 exec, exec, vcc
	s_cbranch_execz .LBB4_142
; %bb.223:                              ;   in Loop: Header=BB4_143 Depth=1
	s_mov_b64 s[12:13], 0
.LBB4_224:                              ;   Parent Loop BB4_143 Depth=1
                                        ; =>  This Inner Loop Header: Depth=2
	s_sleep 1
	global_store_dwordx2 v[18:19], v[14:15], off
	v_mov_b32_e32 v12, s0
	v_mov_b32_e32 v13, s1
	buffer_wbl2 sc0 sc1
	s_waitcnt vmcnt(0)
	global_atomic_cmpswap_x2 v[12:13], v5, v[12:15], s[2:3] offset:24 sc0 sc1
	s_waitcnt vmcnt(0)
	v_cmp_eq_u64_e32 vcc, v[12:13], v[14:15]
	s_or_b64 s[12:13], vcc, s[12:13]
	v_mov_b64_e32 v[14:15], v[12:13]
	s_andn2_b64 exec, exec, s[12:13]
	s_cbranch_execnz .LBB4_224
	s_branch .LBB4_142
.LBB4_225:
                                        ; implicit-def: $vgpr10_vgpr11
	s_cbranch_execnz .LBB4_227
	s_branch .LBB4_253
.LBB4_226:
	s_branch .LBB4_253
.LBB4_227:
	v_readfirstlane_b32 s0, v50
	v_mov_b64_e32 v[0:1], 0
	s_nop 0
	v_cmp_eq_u32_e64 s[0:1], s0, v50
	s_and_saveexec_b64 s[4:5], s[0:1]
	s_cbranch_execz .LBB4_233
; %bb.228:
	v_mov_b32_e32 v3, 0
	global_load_dwordx2 v[12:13], v3, s[2:3] offset:24 sc0 sc1
	s_waitcnt vmcnt(0)
	buffer_inv sc0 sc1
	global_load_dwordx2 v[0:1], v3, s[2:3] offset:40
	global_load_dwordx2 v[4:5], v3, s[2:3]
	s_waitcnt vmcnt(1)
	v_and_b32_e32 v0, v0, v12
	v_and_b32_e32 v1, v1, v13
	v_mul_lo_u32 v1, v1, 24
	v_mul_hi_u32 v10, v0, 24
	v_add_u32_e32 v1, v10, v1
	v_mul_lo_u32 v0, v0, 24
	s_waitcnt vmcnt(0)
	v_lshl_add_u64 v[0:1], v[4:5], 0, v[0:1]
	global_load_dwordx2 v[10:11], v[0:1], off sc0 sc1
	s_waitcnt vmcnt(0)
	global_atomic_cmpswap_x2 v[0:1], v3, v[10:13], s[2:3] offset:24 sc0 sc1
	s_waitcnt vmcnt(0)
	buffer_inv sc0 sc1
	v_cmp_ne_u64_e32 vcc, v[0:1], v[12:13]
	s_and_saveexec_b64 s[6:7], vcc
	s_cbranch_execz .LBB4_232
; %bb.229:
	s_mov_b64 s[10:11], 0
.LBB4_230:                              ; =>This Inner Loop Header: Depth=1
	s_sleep 1
	global_load_dwordx2 v[4:5], v3, s[2:3] offset:40
	global_load_dwordx2 v[10:11], v3, s[2:3]
	v_mov_b64_e32 v[12:13], v[0:1]
	s_waitcnt vmcnt(1)
	v_and_b32_e32 v0, v4, v12
	s_waitcnt vmcnt(0)
	v_mad_u64_u32 v[0:1], s[12:13], v0, 24, v[10:11]
	v_and_b32_e32 v5, v5, v13
	v_mov_b32_e32 v4, v1
	v_mad_u64_u32 v[4:5], s[12:13], v5, 24, v[4:5]
	v_mov_b32_e32 v1, v4
	global_load_dwordx2 v[10:11], v[0:1], off sc0 sc1
	s_waitcnt vmcnt(0)
	global_atomic_cmpswap_x2 v[0:1], v3, v[10:13], s[2:3] offset:24 sc0 sc1
	s_waitcnt vmcnt(0)
	buffer_inv sc0 sc1
	v_cmp_eq_u64_e32 vcc, v[0:1], v[12:13]
	s_or_b64 s[10:11], vcc, s[10:11]
	s_andn2_b64 exec, exec, s[10:11]
	s_cbranch_execnz .LBB4_230
; %bb.231:
	s_or_b64 exec, exec, s[10:11]
.LBB4_232:
	s_or_b64 exec, exec, s[6:7]
.LBB4_233:
	s_or_b64 exec, exec, s[4:5]
	v_mov_b32_e32 v35, 0
	global_load_dwordx2 v[4:5], v35, s[2:3] offset:40
	global_load_dwordx4 v[12:15], v35, s[2:3]
	v_readfirstlane_b32 s5, v1
	v_readfirstlane_b32 s4, v0
	s_mov_b64 s[6:7], exec
	s_waitcnt vmcnt(1)
	v_readfirstlane_b32 s10, v4
	v_readfirstlane_b32 s11, v5
	s_and_b64 s[10:11], s[10:11], s[4:5]
	s_mul_i32 s12, s11, 24
	s_mul_hi_u32 s13, s10, 24
	s_add_i32 s13, s13, s12
	s_mul_i32 s12, s10, 24
	s_waitcnt vmcnt(0)
	v_lshl_add_u64 v[0:1], v[12:13], 0, s[12:13]
	s_and_saveexec_b64 s[12:13], s[0:1]
	s_cbranch_execz .LBB4_235
; %bb.234:
	v_mov_b64_e32 v[16:17], s[6:7]
	v_mov_b32_e32 v18, 2
	v_mov_b32_e32 v19, 1
	global_store_dwordx4 v[0:1], v[16:19], off offset:8
.LBB4_235:
	s_or_b64 exec, exec, s[12:13]
	s_lshl_b64 s[6:7], s[10:11], 12
	v_lshl_add_u64 v[4:5], v[14:15], 0, s[6:7]
	s_movk_i32 s6, 0xff1f
	s_mov_b32 s12, 0
	v_and_or_b32 v8, v8, s6, 32
	v_mov_b32_e32 v10, v35
	v_mov_b32_e32 v11, v35
	v_readfirstlane_b32 s6, v4
	v_readfirstlane_b32 s7, v5
	s_mov_b32 s13, s12
	s_mov_b32 s14, s12
	;; [unrolled: 1-line block ×3, first 2 shown]
	s_nop 1
	global_store_dwordx4 v34, v[8:11], s[6:7]
	s_nop 1
	v_mov_b64_e32 v[8:9], s[12:13]
	v_mov_b64_e32 v[10:11], s[14:15]
	global_store_dwordx4 v34, v[8:11], s[6:7] offset:16
	global_store_dwordx4 v34, v[8:11], s[6:7] offset:32
	;; [unrolled: 1-line block ×3, first 2 shown]
	s_and_saveexec_b64 s[6:7], s[0:1]
	s_cbranch_execz .LBB4_243
; %bb.236:
	v_mov_b32_e32 v3, 0
	global_load_dwordx2 v[16:17], v3, s[2:3] offset:32 sc0 sc1
	global_load_dwordx2 v[8:9], v3, s[2:3] offset:40
	v_mov_b32_e32 v14, s4
	v_mov_b32_e32 v15, s5
	s_waitcnt vmcnt(0)
	v_readfirstlane_b32 s10, v8
	v_readfirstlane_b32 s11, v9
	s_and_b64 s[10:11], s[10:11], s[4:5]
	s_mul_i32 s11, s11, 24
	s_mul_hi_u32 s12, s10, 24
	s_mul_i32 s10, s10, 24
	s_add_i32 s11, s12, s11
	v_lshl_add_u64 v[12:13], v[12:13], 0, s[10:11]
	global_store_dwordx2 v[12:13], v[16:17], off
	buffer_wbl2 sc0 sc1
	s_waitcnt vmcnt(0)
	global_atomic_cmpswap_x2 v[10:11], v3, v[14:17], s[2:3] offset:32 sc0 sc1
	s_waitcnt vmcnt(0)
	v_cmp_ne_u64_e32 vcc, v[10:11], v[16:17]
	s_and_saveexec_b64 s[10:11], vcc
	s_cbranch_execz .LBB4_239
; %bb.237:
	s_mov_b64 s[12:13], 0
.LBB4_238:                              ; =>This Inner Loop Header: Depth=1
	s_sleep 1
	global_store_dwordx2 v[12:13], v[10:11], off
	v_mov_b32_e32 v8, s4
	v_mov_b32_e32 v9, s5
	buffer_wbl2 sc0 sc1
	s_waitcnt vmcnt(0)
	global_atomic_cmpswap_x2 v[8:9], v3, v[8:11], s[2:3] offset:32 sc0 sc1
	s_waitcnt vmcnt(0)
	v_cmp_eq_u64_e32 vcc, v[8:9], v[10:11]
	s_or_b64 s[12:13], vcc, s[12:13]
	v_mov_b64_e32 v[10:11], v[8:9]
	s_andn2_b64 exec, exec, s[12:13]
	s_cbranch_execnz .LBB4_238
.LBB4_239:
	s_or_b64 exec, exec, s[10:11]
	v_mov_b32_e32 v11, 0
	global_load_dwordx2 v[8:9], v11, s[2:3] offset:16
	s_mov_b64 s[10:11], exec
	v_mbcnt_lo_u32_b32 v3, s10, 0
	v_mbcnt_hi_u32_b32 v3, s11, v3
	v_cmp_eq_u32_e32 vcc, 0, v3
	s_and_saveexec_b64 s[12:13], vcc
	s_cbranch_execz .LBB4_241
; %bb.240:
	s_bcnt1_i32_b64 s10, s[10:11]
	v_mov_b32_e32 v10, s10
	buffer_wbl2 sc0 sc1
	s_waitcnt vmcnt(0)
	global_atomic_add_x2 v[8:9], v[10:11], off offset:8 sc1
.LBB4_241:
	s_or_b64 exec, exec, s[12:13]
	s_waitcnt vmcnt(0)
	global_load_dwordx2 v[10:11], v[8:9], off offset:16
	s_waitcnt vmcnt(0)
	v_cmp_eq_u64_e32 vcc, 0, v[10:11]
	s_cbranch_vccnz .LBB4_243
; %bb.242:
	global_load_dword v8, v[8:9], off offset:24
	v_mov_b32_e32 v9, 0
	s_waitcnt vmcnt(0)
	v_readfirstlane_b32 s10, v8
	s_and_b32 m0, s10, 0xffffff
	buffer_wbl2 sc0 sc1
	global_store_dwordx2 v[10:11], v[8:9], off sc0 sc1
	s_sendmsg sendmsg(MSG_INTERRUPT)
.LBB4_243:
	s_or_b64 exec, exec, s[6:7]
	v_lshl_add_u64 v[4:5], v[4:5], 0, v[34:35]
	s_branch .LBB4_247
.LBB4_244:                              ;   in Loop: Header=BB4_247 Depth=1
	s_or_b64 exec, exec, s[6:7]
	v_readfirstlane_b32 s6, v3
	s_cmp_eq_u32 s6, 0
	s_cbranch_scc1 .LBB4_246
; %bb.245:                              ;   in Loop: Header=BB4_247 Depth=1
	s_sleep 1
	s_cbranch_execnz .LBB4_247
	s_branch .LBB4_249
.LBB4_246:
	s_branch .LBB4_249
.LBB4_247:                              ; =>This Inner Loop Header: Depth=1
	v_mov_b32_e32 v3, 1
	s_and_saveexec_b64 s[6:7], s[0:1]
	s_cbranch_execz .LBB4_244
; %bb.248:                              ;   in Loop: Header=BB4_247 Depth=1
	global_load_dword v3, v[0:1], off offset:20 sc0 sc1
	s_waitcnt vmcnt(0)
	buffer_inv sc0 sc1
	v_and_b32_e32 v3, 1, v3
	s_branch .LBB4_244
.LBB4_249:
	global_load_dwordx2 v[10:11], v[4:5], off
	s_and_saveexec_b64 s[6:7], s[0:1]
	s_cbranch_execz .LBB4_252
; %bb.250:
	v_mov_b32_e32 v3, 0
	global_load_dwordx2 v[0:1], v3, s[2:3] offset:40
	global_load_dwordx2 v[16:17], v3, s[2:3] offset:24 sc0 sc1
	global_load_dwordx2 v[4:5], v3, s[2:3]
	s_waitcnt vmcnt(2)
	v_readfirstlane_b32 s10, v0
	v_readfirstlane_b32 s11, v1
	s_add_u32 s12, s10, 1
	s_addc_u32 s13, s11, 0
	s_add_u32 s0, s12, s4
	s_addc_u32 s1, s13, s5
	s_cmp_eq_u64 s[0:1], 0
	s_cselect_b32 s1, s13, s1
	s_cselect_b32 s0, s12, s0
	s_and_b64 s[4:5], s[0:1], s[10:11]
	s_mul_i32 s5, s5, 24
	s_mul_hi_u32 s10, s4, 24
	s_mul_i32 s4, s4, 24
	s_add_i32 s5, s10, s5
	s_waitcnt vmcnt(0)
	v_lshl_add_u64 v[0:1], v[4:5], 0, s[4:5]
	v_mov_b32_e32 v14, s0
	global_store_dwordx2 v[0:1], v[16:17], off
	v_mov_b32_e32 v15, s1
	buffer_wbl2 sc0 sc1
	s_waitcnt vmcnt(0)
	global_atomic_cmpswap_x2 v[14:15], v3, v[14:17], s[2:3] offset:24 sc0 sc1
	s_mov_b64 s[4:5], 0
	s_waitcnt vmcnt(0)
	v_cmp_ne_u64_e32 vcc, v[14:15], v[16:17]
	s_and_b64 exec, exec, vcc
	s_cbranch_execz .LBB4_252
.LBB4_251:                              ; =>This Inner Loop Header: Depth=1
	s_sleep 1
	global_store_dwordx2 v[0:1], v[14:15], off
	v_mov_b32_e32 v12, s0
	v_mov_b32_e32 v13, s1
	buffer_wbl2 sc0 sc1
	s_waitcnt vmcnt(0)
	global_atomic_cmpswap_x2 v[4:5], v3, v[12:15], s[2:3] offset:24 sc0 sc1
	s_waitcnt vmcnt(0)
	v_cmp_eq_u64_e32 vcc, v[4:5], v[14:15]
	s_or_b64 s[4:5], vcc, s[4:5]
	v_mov_b64_e32 v[14:15], v[4:5]
	s_andn2_b64 exec, exec, s[4:5]
	s_cbranch_execnz .LBB4_251
.LBB4_252:
	s_or_b64 exec, exec, s[6:7]
.LBB4_253:
	v_readfirstlane_b32 s0, v50
	v_mov_b64_e32 v[0:1], 0
	s_nop 0
	v_cmp_eq_u32_e64 s[0:1], s0, v50
	s_and_saveexec_b64 s[4:5], s[0:1]
	s_cbranch_execz .LBB4_259
; %bb.254:
	v_mov_b32_e32 v3, 0
	global_load_dwordx2 v[14:15], v3, s[2:3] offset:24 sc0 sc1
	s_waitcnt vmcnt(0)
	buffer_inv sc0 sc1
	global_load_dwordx2 v[0:1], v3, s[2:3] offset:40
	global_load_dwordx2 v[4:5], v3, s[2:3]
	s_waitcnt vmcnt(1)
	v_and_b32_e32 v0, v0, v14
	v_and_b32_e32 v1, v1, v15
	v_mul_lo_u32 v1, v1, 24
	v_mul_hi_u32 v8, v0, 24
	v_add_u32_e32 v1, v8, v1
	v_mul_lo_u32 v0, v0, 24
	s_waitcnt vmcnt(0)
	v_lshl_add_u64 v[0:1], v[4:5], 0, v[0:1]
	global_load_dwordx2 v[12:13], v[0:1], off sc0 sc1
	s_waitcnt vmcnt(0)
	global_atomic_cmpswap_x2 v[0:1], v3, v[12:15], s[2:3] offset:24 sc0 sc1
	s_waitcnt vmcnt(0)
	buffer_inv sc0 sc1
	v_cmp_ne_u64_e32 vcc, v[0:1], v[14:15]
	s_and_saveexec_b64 s[6:7], vcc
	s_cbranch_execz .LBB4_258
; %bb.255:
	s_mov_b64 s[10:11], 0
.LBB4_256:                              ; =>This Inner Loop Header: Depth=1
	s_sleep 1
	global_load_dwordx2 v[4:5], v3, s[2:3] offset:40
	global_load_dwordx2 v[8:9], v3, s[2:3]
	v_mov_b64_e32 v[14:15], v[0:1]
	s_waitcnt vmcnt(1)
	v_and_b32_e32 v0, v4, v14
	s_waitcnt vmcnt(0)
	v_mad_u64_u32 v[0:1], s[12:13], v0, 24, v[8:9]
	v_and_b32_e32 v5, v5, v15
	v_mov_b32_e32 v4, v1
	v_mad_u64_u32 v[4:5], s[12:13], v5, 24, v[4:5]
	v_mov_b32_e32 v1, v4
	global_load_dwordx2 v[12:13], v[0:1], off sc0 sc1
	s_waitcnt vmcnt(0)
	global_atomic_cmpswap_x2 v[0:1], v3, v[12:15], s[2:3] offset:24 sc0 sc1
	s_waitcnt vmcnt(0)
	buffer_inv sc0 sc1
	v_cmp_eq_u64_e32 vcc, v[0:1], v[14:15]
	s_or_b64 s[10:11], vcc, s[10:11]
	s_andn2_b64 exec, exec, s[10:11]
	s_cbranch_execnz .LBB4_256
; %bb.257:
	s_or_b64 exec, exec, s[10:11]
.LBB4_258:
	s_or_b64 exec, exec, s[6:7]
.LBB4_259:
	s_or_b64 exec, exec, s[4:5]
	v_mov_b32_e32 v35, 0
	global_load_dwordx2 v[4:5], v35, s[2:3] offset:40
	global_load_dwordx4 v[14:17], v35, s[2:3]
	v_readfirstlane_b32 s5, v1
	v_readfirstlane_b32 s4, v0
	s_mov_b64 s[6:7], exec
	s_waitcnt vmcnt(1)
	v_readfirstlane_b32 s10, v4
	v_readfirstlane_b32 s11, v5
	s_and_b64 s[10:11], s[10:11], s[4:5]
	s_mul_i32 s12, s11, 24
	s_mul_hi_u32 s13, s10, 24
	s_add_i32 s13, s13, s12
	s_mul_i32 s12, s10, 24
	s_waitcnt vmcnt(0)
	v_lshl_add_u64 v[4:5], v[14:15], 0, s[12:13]
	s_and_saveexec_b64 s[12:13], s[0:1]
	s_cbranch_execz .LBB4_261
; %bb.260:
	v_mov_b64_e32 v[18:19], s[6:7]
	v_mov_b32_e32 v20, 2
	v_mov_b32_e32 v21, 1
	global_store_dwordx4 v[4:5], v[18:21], off offset:8
.LBB4_261:
	s_or_b64 exec, exec, s[12:13]
	s_mov_b32 s12, 0
	s_lshl_b64 s[6:7], s[10:11], 12
	s_mov_b32 s13, s12
	v_lshl_add_u64 v[8:9], v[16:17], 0, s[6:7]
	s_movk_i32 s6, 0xff1f
	v_mov_b32_e32 v12, v2
	s_mov_b32 s14, s12
	s_mov_b32 s15, s12
	v_mov_b64_e32 v[0:1], s[12:13]
	v_and_or_b32 v10, v10, s6, 32
	v_mov_b32_e32 v13, v35
	v_readfirstlane_b32 s6, v8
	v_readfirstlane_b32 s7, v9
	v_mov_b64_e32 v[2:3], s[14:15]
	s_nop 3
	global_store_dwordx4 v34, v[10:13], s[6:7]
	global_store_dwordx4 v34, v[0:3], s[6:7] offset:16
	global_store_dwordx4 v34, v[0:3], s[6:7] offset:32
	;; [unrolled: 1-line block ×3, first 2 shown]
	s_and_saveexec_b64 s[6:7], s[0:1]
	s_cbranch_execz .LBB4_269
; %bb.262:
	v_mov_b32_e32 v12, 0
	global_load_dwordx2 v[18:19], v12, s[2:3] offset:32 sc0 sc1
	global_load_dwordx2 v[0:1], v12, s[2:3] offset:40
	v_mov_b32_e32 v16, s4
	v_mov_b32_e32 v17, s5
	s_waitcnt vmcnt(0)
	v_readfirstlane_b32 s10, v0
	v_readfirstlane_b32 s11, v1
	s_and_b64 s[10:11], s[10:11], s[4:5]
	s_mul_i32 s11, s11, 24
	s_mul_hi_u32 s12, s10, 24
	s_mul_i32 s10, s10, 24
	s_add_i32 s11, s12, s11
	v_lshl_add_u64 v[10:11], v[14:15], 0, s[10:11]
	global_store_dwordx2 v[10:11], v[18:19], off
	buffer_wbl2 sc0 sc1
	s_waitcnt vmcnt(0)
	global_atomic_cmpswap_x2 v[2:3], v12, v[16:19], s[2:3] offset:32 sc0 sc1
	s_waitcnt vmcnt(0)
	v_cmp_ne_u64_e32 vcc, v[2:3], v[18:19]
	s_and_saveexec_b64 s[10:11], vcc
	s_cbranch_execz .LBB4_265
; %bb.263:
	s_mov_b64 s[12:13], 0
.LBB4_264:                              ; =>This Inner Loop Header: Depth=1
	s_sleep 1
	global_store_dwordx2 v[10:11], v[2:3], off
	v_mov_b32_e32 v0, s4
	v_mov_b32_e32 v1, s5
	buffer_wbl2 sc0 sc1
	s_waitcnt vmcnt(0)
	global_atomic_cmpswap_x2 v[0:1], v12, v[0:3], s[2:3] offset:32 sc0 sc1
	s_waitcnt vmcnt(0)
	v_cmp_eq_u64_e32 vcc, v[0:1], v[2:3]
	s_or_b64 s[12:13], vcc, s[12:13]
	v_mov_b64_e32 v[2:3], v[0:1]
	s_andn2_b64 exec, exec, s[12:13]
	s_cbranch_execnz .LBB4_264
.LBB4_265:
	s_or_b64 exec, exec, s[10:11]
	v_mov_b32_e32 v3, 0
	global_load_dwordx2 v[0:1], v3, s[2:3] offset:16
	s_mov_b64 s[10:11], exec
	v_mbcnt_lo_u32_b32 v2, s10, 0
	v_mbcnt_hi_u32_b32 v2, s11, v2
	v_cmp_eq_u32_e32 vcc, 0, v2
	s_and_saveexec_b64 s[12:13], vcc
	s_cbranch_execz .LBB4_267
; %bb.266:
	s_bcnt1_i32_b64 s10, s[10:11]
	v_mov_b32_e32 v2, s10
	buffer_wbl2 sc0 sc1
	s_waitcnt vmcnt(0)
	global_atomic_add_x2 v[0:1], v[2:3], off offset:8 sc1
.LBB4_267:
	s_or_b64 exec, exec, s[12:13]
	s_waitcnt vmcnt(0)
	global_load_dwordx2 v[2:3], v[0:1], off offset:16
	s_waitcnt vmcnt(0)
	v_cmp_eq_u64_e32 vcc, 0, v[2:3]
	s_cbranch_vccnz .LBB4_269
; %bb.268:
	global_load_dword v0, v[0:1], off offset:24
	v_mov_b32_e32 v1, 0
	s_waitcnt vmcnt(0)
	v_readfirstlane_b32 s10, v0
	s_and_b32 m0, s10, 0xffffff
	buffer_wbl2 sc0 sc1
	global_store_dwordx2 v[2:3], v[0:1], off sc0 sc1
	s_sendmsg sendmsg(MSG_INTERRUPT)
.LBB4_269:
	s_or_b64 exec, exec, s[6:7]
	v_lshl_add_u64 v[0:1], v[8:9], 0, v[34:35]
	s_branch .LBB4_273
.LBB4_270:                              ;   in Loop: Header=BB4_273 Depth=1
	s_or_b64 exec, exec, s[6:7]
	v_readfirstlane_b32 s6, v2
	s_cmp_eq_u32 s6, 0
	s_cbranch_scc1 .LBB4_272
; %bb.271:                              ;   in Loop: Header=BB4_273 Depth=1
	s_sleep 1
	s_cbranch_execnz .LBB4_273
	s_branch .LBB4_275
.LBB4_272:
	s_branch .LBB4_275
.LBB4_273:                              ; =>This Inner Loop Header: Depth=1
	v_mov_b32_e32 v2, 1
	s_and_saveexec_b64 s[6:7], s[0:1]
	s_cbranch_execz .LBB4_270
; %bb.274:                              ;   in Loop: Header=BB4_273 Depth=1
	global_load_dword v2, v[4:5], off offset:20 sc0 sc1
	s_waitcnt vmcnt(0)
	buffer_inv sc0 sc1
	v_and_b32_e32 v2, 1, v2
	s_branch .LBB4_270
.LBB4_275:
	global_load_dwordx2 v[0:1], v[0:1], off
	s_and_saveexec_b64 s[6:7], s[0:1]
	s_cbranch_execz .LBB4_278
; %bb.276:
	v_mov_b32_e32 v10, 0
	global_load_dwordx2 v[2:3], v10, s[2:3] offset:40
	global_load_dwordx2 v[14:15], v10, s[2:3] offset:24 sc0 sc1
	global_load_dwordx2 v[4:5], v10, s[2:3]
	s_waitcnt vmcnt(2)
	v_readfirstlane_b32 s10, v2
	v_readfirstlane_b32 s11, v3
	s_add_u32 s12, s10, 1
	s_addc_u32 s13, s11, 0
	s_add_u32 s0, s12, s4
	s_addc_u32 s1, s13, s5
	s_cmp_eq_u64 s[0:1], 0
	s_cselect_b32 s1, s13, s1
	s_cselect_b32 s0, s12, s0
	s_and_b64 s[4:5], s[0:1], s[10:11]
	s_mul_i32 s5, s5, 24
	s_mul_hi_u32 s10, s4, 24
	s_mul_i32 s4, s4, 24
	s_add_i32 s5, s10, s5
	s_waitcnt vmcnt(0)
	v_lshl_add_u64 v[8:9], v[4:5], 0, s[4:5]
	v_mov_b32_e32 v12, s0
	global_store_dwordx2 v[8:9], v[14:15], off
	v_mov_b32_e32 v13, s1
	buffer_wbl2 sc0 sc1
	s_waitcnt vmcnt(0)
	global_atomic_cmpswap_x2 v[4:5], v10, v[12:15], s[2:3] offset:24 sc0 sc1
	s_mov_b64 s[4:5], 0
	s_waitcnt vmcnt(0)
	v_cmp_ne_u64_e32 vcc, v[4:5], v[14:15]
	s_and_b64 exec, exec, vcc
	s_cbranch_execz .LBB4_278
.LBB4_277:                              ; =>This Inner Loop Header: Depth=1
	s_sleep 1
	global_store_dwordx2 v[8:9], v[4:5], off
	v_mov_b32_e32 v2, s0
	v_mov_b32_e32 v3, s1
	buffer_wbl2 sc0 sc1
	s_waitcnt vmcnt(0)
	global_atomic_cmpswap_x2 v[2:3], v10, v[2:5], s[2:3] offset:24 sc0 sc1
	s_waitcnt vmcnt(0)
	v_cmp_eq_u64_e32 vcc, v[2:3], v[4:5]
	s_or_b64 s[4:5], vcc, s[4:5]
	v_mov_b64_e32 v[4:5], v[2:3]
	s_andn2_b64 exec, exec, s[4:5]
	s_cbranch_execnz .LBB4_277
.LBB4_278:
	s_or_b64 exec, exec, s[6:7]
	s_mov_b64 s[0:1], 0
	v_mov_b64_e32 v[2:3], v[36:37]
.LBB4_279:                              ; =>This Inner Loop Header: Depth=1
	global_load_ubyte v4, v[2:3], off
	v_lshl_add_u64 v[2:3], v[2:3], 0, 1
	s_waitcnt vmcnt(0)
	v_cmp_eq_u16_e32 vcc, 0, v4
	s_or_b64 s[0:1], vcc, s[0:1]
	s_andn2_b64 exec, exec, s[0:1]
	s_cbranch_execnz .LBB4_279
; %bb.280:
	s_or_b64 exec, exec, s[0:1]
	s_mov_b64 s[4:5], 0
	v_cmp_ne_u64_e32 vcc, 0, v[36:37]
	s_and_saveexec_b64 s[0:1], vcc
	s_xor_b64 s[6:7], exec, s[0:1]
	s_cbranch_execz .LBB4_366
; %bb.281:
	v_sub_u32_e32 v28, v2, v36
	v_ashrrev_i32_e32 v29, 31, v28
	v_and_b32_e32 v30, 2, v0
	v_mov_b32_e32 v35, 0
	v_and_b32_e32 v0, -3, v0
	s_mov_b32 s18, 0
	s_movk_i32 s19, 0x1e0
	v_mov_b32_e32 v10, 2
	v_mov_b32_e32 v11, 1
	s_branch .LBB4_283
.LBB4_282:                              ;   in Loop: Header=BB4_283 Depth=1
	s_or_b64 exec, exec, s[12:13]
	v_sub_co_u32_e32 v28, vcc, v28, v32
	v_lshl_add_u64 v[36:37], v[36:37], 0, v[32:33]
	s_nop 0
	v_subb_co_u32_e32 v29, vcc, v29, v33, vcc
	v_cmp_eq_u64_e32 vcc, 0, v[28:29]
	s_or_b64 s[4:5], vcc, s[4:5]
	s_andn2_b64 exec, exec, s[4:5]
	s_cbranch_execz .LBB4_365
.LBB4_283:                              ; =>This Loop Header: Depth=1
                                        ;     Child Loop BB4_286 Depth 2
                                        ;     Child Loop BB4_294 Depth 2
	;; [unrolled: 1-line block ×11, first 2 shown]
	v_cmp_gt_u64_e32 vcc, 56, v[28:29]
	v_lshl_add_u64 v[8:9], v[36:37], 0, 8
	s_nop 0
	v_cndmask_b32_e32 v33, 0, v29, vcc
	v_cndmask_b32_e32 v32, 56, v28, vcc
	v_cmp_gt_u64_e32 vcc, 8, v[28:29]
	s_and_saveexec_b64 s[0:1], vcc
	s_xor_b64 s[0:1], exec, s[0:1]
	s_cbranch_execz .LBB4_289
; %bb.284:                              ;   in Loop: Header=BB4_283 Depth=1
	v_mov_b64_e32 v[2:3], 0
	v_cmp_ne_u64_e32 vcc, 0, v[28:29]
	s_and_saveexec_b64 s[10:11], vcc
	s_cbranch_execz .LBB4_288
; %bb.285:                              ;   in Loop: Header=BB4_283 Depth=1
	v_lshlrev_b64 v[4:5], 3, v[32:33]
	s_mov_b64 s[12:13], 0
	v_mov_b64_e32 v[2:3], 0
	v_mov_b64_e32 v[8:9], v[36:37]
	s_mov_b64 s[14:15], 0
.LBB4_286:                              ;   Parent Loop BB4_283 Depth=1
                                        ; =>  This Inner Loop Header: Depth=2
	global_load_ubyte v5, v[8:9], off
	v_mov_b32_e32 v13, s18
	v_lshl_add_u64 v[8:9], v[8:9], 0, 1
	s_waitcnt vmcnt(0)
	v_and_b32_e32 v12, 0xffff, v5
	v_lshlrev_b64 v[12:13], s14, v[12:13]
	s_add_u32 s14, s14, 8
	s_addc_u32 s15, s15, 0
	v_cmp_eq_u32_e32 vcc, s14, v4
	v_or_b32_e32 v3, v13, v3
	s_or_b64 s[12:13], vcc, s[12:13]
	v_or_b32_e32 v2, v12, v2
	s_andn2_b64 exec, exec, s[12:13]
	s_cbranch_execnz .LBB4_286
; %bb.287:                              ;   in Loop: Header=BB4_283 Depth=1
	s_or_b64 exec, exec, s[12:13]
.LBB4_288:                              ;   in Loop: Header=BB4_283 Depth=1
	s_or_b64 exec, exec, s[10:11]
	v_mov_b64_e32 v[8:9], v[36:37]
.LBB4_289:                              ;   in Loop: Header=BB4_283 Depth=1
	s_or_saveexec_b64 s[0:1], s[0:1]
	v_mov_b32_e32 v14, 0
	s_xor_b64 exec, exec, s[0:1]
	s_cbranch_execz .LBB4_291
; %bb.290:                              ;   in Loop: Header=BB4_283 Depth=1
	global_load_dwordx2 v[2:3], v[36:37], off
	v_add_u32_e32 v14, -8, v32
.LBB4_291:                              ;   in Loop: Header=BB4_283 Depth=1
	s_or_b64 exec, exec, s[0:1]
	v_cmp_gt_u32_e32 vcc, 8, v14
	v_lshl_add_u64 v[4:5], v[8:9], 0, 8
                                        ; implicit-def: $vgpr12_vgpr13
	s_and_saveexec_b64 s[0:1], vcc
	s_xor_b64 s[0:1], exec, s[0:1]
	s_cbranch_execz .LBB4_297
; %bb.292:                              ;   in Loop: Header=BB4_283 Depth=1
	v_cmp_ne_u32_e32 vcc, 0, v14
	v_mov_b64_e32 v[12:13], 0
	s_and_saveexec_b64 s[10:11], vcc
	s_cbranch_execz .LBB4_296
; %bb.293:                              ;   in Loop: Header=BB4_283 Depth=1
	s_mov_b64 s[12:13], 0
	v_mov_b64_e32 v[12:13], 0
	s_mov_b64 s[14:15], 0
	s_mov_b64 s[16:17], 0
.LBB4_294:                              ;   Parent Loop BB4_283 Depth=1
                                        ; =>  This Inner Loop Header: Depth=2
	v_lshl_add_u64 v[4:5], v[8:9], 0, s[16:17]
	global_load_ubyte v4, v[4:5], off
	s_add_u32 s16, s16, 1
	v_mov_b32_e32 v5, s18
	s_addc_u32 s17, s17, 0
	v_cmp_eq_u32_e32 vcc, s16, v14
	s_waitcnt vmcnt(0)
	v_and_b32_e32 v4, 0xffff, v4
	v_lshlrev_b64 v[4:5], s14, v[4:5]
	s_add_u32 s14, s14, 8
	s_addc_u32 s15, s15, 0
	v_or_b32_e32 v13, v5, v13
	s_or_b64 s[12:13], vcc, s[12:13]
	v_or_b32_e32 v12, v4, v12
	s_andn2_b64 exec, exec, s[12:13]
	s_cbranch_execnz .LBB4_294
; %bb.295:                              ;   in Loop: Header=BB4_283 Depth=1
	s_or_b64 exec, exec, s[12:13]
.LBB4_296:                              ;   in Loop: Header=BB4_283 Depth=1
	s_or_b64 exec, exec, s[10:11]
	v_mov_b64_e32 v[4:5], v[8:9]
                                        ; implicit-def: $vgpr14
.LBB4_297:                              ;   in Loop: Header=BB4_283 Depth=1
	s_or_saveexec_b64 s[0:1], s[0:1]
	v_mov_b32_e32 v16, 0
	s_xor_b64 exec, exec, s[0:1]
	s_cbranch_execz .LBB4_299
; %bb.298:                              ;   in Loop: Header=BB4_283 Depth=1
	global_load_dwordx2 v[12:13], v[8:9], off
	v_add_u32_e32 v16, -8, v14
.LBB4_299:                              ;   in Loop: Header=BB4_283 Depth=1
	s_or_b64 exec, exec, s[0:1]
	v_cmp_gt_u32_e32 vcc, 8, v16
	v_lshl_add_u64 v[8:9], v[4:5], 0, 8
	s_and_saveexec_b64 s[0:1], vcc
	s_xor_b64 s[0:1], exec, s[0:1]
	s_cbranch_execz .LBB4_305
; %bb.300:                              ;   in Loop: Header=BB4_283 Depth=1
	v_cmp_ne_u32_e32 vcc, 0, v16
	v_mov_b64_e32 v[14:15], 0
	s_and_saveexec_b64 s[10:11], vcc
	s_cbranch_execz .LBB4_304
; %bb.301:                              ;   in Loop: Header=BB4_283 Depth=1
	s_mov_b64 s[12:13], 0
	v_mov_b64_e32 v[14:15], 0
	s_mov_b64 s[14:15], 0
	s_mov_b64 s[16:17], 0
.LBB4_302:                              ;   Parent Loop BB4_283 Depth=1
                                        ; =>  This Inner Loop Header: Depth=2
	v_lshl_add_u64 v[8:9], v[4:5], 0, s[16:17]
	global_load_ubyte v8, v[8:9], off
	s_add_u32 s16, s16, 1
	v_mov_b32_e32 v9, s18
	s_addc_u32 s17, s17, 0
	v_cmp_eq_u32_e32 vcc, s16, v16
	s_waitcnt vmcnt(0)
	v_and_b32_e32 v8, 0xffff, v8
	v_lshlrev_b64 v[8:9], s14, v[8:9]
	s_add_u32 s14, s14, 8
	s_addc_u32 s15, s15, 0
	v_or_b32_e32 v15, v9, v15
	s_or_b64 s[12:13], vcc, s[12:13]
	v_or_b32_e32 v14, v8, v14
	s_andn2_b64 exec, exec, s[12:13]
	s_cbranch_execnz .LBB4_302
; %bb.303:                              ;   in Loop: Header=BB4_283 Depth=1
	s_or_b64 exec, exec, s[12:13]
.LBB4_304:                              ;   in Loop: Header=BB4_283 Depth=1
	s_or_b64 exec, exec, s[10:11]
	v_mov_b64_e32 v[8:9], v[4:5]
                                        ; implicit-def: $vgpr16
.LBB4_305:                              ;   in Loop: Header=BB4_283 Depth=1
	s_or_saveexec_b64 s[0:1], s[0:1]
	v_mov_b32_e32 v18, 0
	s_xor_b64 exec, exec, s[0:1]
	s_cbranch_execz .LBB4_307
; %bb.306:                              ;   in Loop: Header=BB4_283 Depth=1
	global_load_dwordx2 v[14:15], v[4:5], off
	v_add_u32_e32 v18, -8, v16
.LBB4_307:                              ;   in Loop: Header=BB4_283 Depth=1
	s_or_b64 exec, exec, s[0:1]
	v_cmp_gt_u32_e32 vcc, 8, v18
	v_lshl_add_u64 v[4:5], v[8:9], 0, 8
                                        ; implicit-def: $vgpr16_vgpr17
	s_and_saveexec_b64 s[0:1], vcc
	s_xor_b64 s[0:1], exec, s[0:1]
	s_cbranch_execz .LBB4_313
; %bb.308:                              ;   in Loop: Header=BB4_283 Depth=1
	v_cmp_ne_u32_e32 vcc, 0, v18
	v_mov_b64_e32 v[16:17], 0
	s_and_saveexec_b64 s[10:11], vcc
	s_cbranch_execz .LBB4_312
; %bb.309:                              ;   in Loop: Header=BB4_283 Depth=1
	s_mov_b64 s[12:13], 0
	v_mov_b64_e32 v[16:17], 0
	s_mov_b64 s[14:15], 0
	s_mov_b64 s[16:17], 0
.LBB4_310:                              ;   Parent Loop BB4_283 Depth=1
                                        ; =>  This Inner Loop Header: Depth=2
	v_lshl_add_u64 v[4:5], v[8:9], 0, s[16:17]
	global_load_ubyte v4, v[4:5], off
	s_add_u32 s16, s16, 1
	v_mov_b32_e32 v5, s18
	s_addc_u32 s17, s17, 0
	v_cmp_eq_u32_e32 vcc, s16, v18
	s_waitcnt vmcnt(0)
	v_and_b32_e32 v4, 0xffff, v4
	v_lshlrev_b64 v[4:5], s14, v[4:5]
	s_add_u32 s14, s14, 8
	s_addc_u32 s15, s15, 0
	v_or_b32_e32 v17, v5, v17
	s_or_b64 s[12:13], vcc, s[12:13]
	v_or_b32_e32 v16, v4, v16
	s_andn2_b64 exec, exec, s[12:13]
	s_cbranch_execnz .LBB4_310
; %bb.311:                              ;   in Loop: Header=BB4_283 Depth=1
	s_or_b64 exec, exec, s[12:13]
.LBB4_312:                              ;   in Loop: Header=BB4_283 Depth=1
	s_or_b64 exec, exec, s[10:11]
	v_mov_b64_e32 v[4:5], v[8:9]
                                        ; implicit-def: $vgpr18
.LBB4_313:                              ;   in Loop: Header=BB4_283 Depth=1
	s_or_saveexec_b64 s[0:1], s[0:1]
	v_mov_b32_e32 v20, 0
	s_xor_b64 exec, exec, s[0:1]
	s_cbranch_execz .LBB4_315
; %bb.314:                              ;   in Loop: Header=BB4_283 Depth=1
	global_load_dwordx2 v[16:17], v[8:9], off
	v_add_u32_e32 v20, -8, v18
.LBB4_315:                              ;   in Loop: Header=BB4_283 Depth=1
	s_or_b64 exec, exec, s[0:1]
	v_cmp_gt_u32_e32 vcc, 8, v20
	v_lshl_add_u64 v[8:9], v[4:5], 0, 8
	s_and_saveexec_b64 s[0:1], vcc
	s_xor_b64 s[0:1], exec, s[0:1]
	s_cbranch_execz .LBB4_321
; %bb.316:                              ;   in Loop: Header=BB4_283 Depth=1
	v_cmp_ne_u32_e32 vcc, 0, v20
	v_mov_b64_e32 v[18:19], 0
	s_and_saveexec_b64 s[10:11], vcc
	s_cbranch_execz .LBB4_320
; %bb.317:                              ;   in Loop: Header=BB4_283 Depth=1
	s_mov_b64 s[12:13], 0
	v_mov_b64_e32 v[18:19], 0
	s_mov_b64 s[14:15], 0
	s_mov_b64 s[16:17], 0
.LBB4_318:                              ;   Parent Loop BB4_283 Depth=1
                                        ; =>  This Inner Loop Header: Depth=2
	v_lshl_add_u64 v[8:9], v[4:5], 0, s[16:17]
	global_load_ubyte v8, v[8:9], off
	s_add_u32 s16, s16, 1
	v_mov_b32_e32 v9, s18
	s_addc_u32 s17, s17, 0
	v_cmp_eq_u32_e32 vcc, s16, v20
	s_waitcnt vmcnt(0)
	v_and_b32_e32 v8, 0xffff, v8
	v_lshlrev_b64 v[8:9], s14, v[8:9]
	s_add_u32 s14, s14, 8
	s_addc_u32 s15, s15, 0
	v_or_b32_e32 v19, v9, v19
	s_or_b64 s[12:13], vcc, s[12:13]
	v_or_b32_e32 v18, v8, v18
	s_andn2_b64 exec, exec, s[12:13]
	s_cbranch_execnz .LBB4_318
; %bb.319:                              ;   in Loop: Header=BB4_283 Depth=1
	s_or_b64 exec, exec, s[12:13]
.LBB4_320:                              ;   in Loop: Header=BB4_283 Depth=1
	s_or_b64 exec, exec, s[10:11]
	v_mov_b64_e32 v[8:9], v[4:5]
                                        ; implicit-def: $vgpr20
.LBB4_321:                              ;   in Loop: Header=BB4_283 Depth=1
	s_or_saveexec_b64 s[0:1], s[0:1]
	v_mov_b32_e32 v22, 0
	s_xor_b64 exec, exec, s[0:1]
	s_cbranch_execz .LBB4_323
; %bb.322:                              ;   in Loop: Header=BB4_283 Depth=1
	global_load_dwordx2 v[18:19], v[4:5], off
	v_add_u32_e32 v22, -8, v20
.LBB4_323:                              ;   in Loop: Header=BB4_283 Depth=1
	s_or_b64 exec, exec, s[0:1]
	v_cmp_gt_u32_e32 vcc, 8, v22
	v_lshl_add_u64 v[4:5], v[8:9], 0, 8
                                        ; implicit-def: $vgpr20_vgpr21
	s_and_saveexec_b64 s[0:1], vcc
	s_xor_b64 s[0:1], exec, s[0:1]
	s_cbranch_execz .LBB4_329
; %bb.324:                              ;   in Loop: Header=BB4_283 Depth=1
	v_cmp_ne_u32_e32 vcc, 0, v22
	v_mov_b64_e32 v[20:21], 0
	s_and_saveexec_b64 s[10:11], vcc
	s_cbranch_execz .LBB4_328
; %bb.325:                              ;   in Loop: Header=BB4_283 Depth=1
	s_mov_b64 s[12:13], 0
	v_mov_b64_e32 v[20:21], 0
	s_mov_b64 s[14:15], 0
	s_mov_b64 s[16:17], 0
.LBB4_326:                              ;   Parent Loop BB4_283 Depth=1
                                        ; =>  This Inner Loop Header: Depth=2
	v_lshl_add_u64 v[4:5], v[8:9], 0, s[16:17]
	global_load_ubyte v4, v[4:5], off
	s_add_u32 s16, s16, 1
	v_mov_b32_e32 v5, s18
	s_addc_u32 s17, s17, 0
	v_cmp_eq_u32_e32 vcc, s16, v22
	s_waitcnt vmcnt(0)
	v_and_b32_e32 v4, 0xffff, v4
	v_lshlrev_b64 v[4:5], s14, v[4:5]
	s_add_u32 s14, s14, 8
	s_addc_u32 s15, s15, 0
	v_or_b32_e32 v21, v5, v21
	s_or_b64 s[12:13], vcc, s[12:13]
	v_or_b32_e32 v20, v4, v20
	s_andn2_b64 exec, exec, s[12:13]
	s_cbranch_execnz .LBB4_326
; %bb.327:                              ;   in Loop: Header=BB4_283 Depth=1
	s_or_b64 exec, exec, s[12:13]
.LBB4_328:                              ;   in Loop: Header=BB4_283 Depth=1
	s_or_b64 exec, exec, s[10:11]
	v_mov_b64_e32 v[4:5], v[8:9]
                                        ; implicit-def: $vgpr22
.LBB4_329:                              ;   in Loop: Header=BB4_283 Depth=1
	s_or_saveexec_b64 s[0:1], s[0:1]
	v_mov_b32_e32 v24, 0
	s_xor_b64 exec, exec, s[0:1]
	s_cbranch_execz .LBB4_331
; %bb.330:                              ;   in Loop: Header=BB4_283 Depth=1
	global_load_dwordx2 v[20:21], v[8:9], off
	v_add_u32_e32 v24, -8, v22
.LBB4_331:                              ;   in Loop: Header=BB4_283 Depth=1
	s_or_b64 exec, exec, s[0:1]
	v_cmp_gt_u32_e32 vcc, 8, v24
	s_and_saveexec_b64 s[0:1], vcc
	s_xor_b64 s[0:1], exec, s[0:1]
	s_cbranch_execz .LBB4_337
; %bb.332:                              ;   in Loop: Header=BB4_283 Depth=1
	v_cmp_ne_u32_e32 vcc, 0, v24
	v_mov_b64_e32 v[22:23], 0
	s_and_saveexec_b64 s[10:11], vcc
	s_cbranch_execz .LBB4_336
; %bb.333:                              ;   in Loop: Header=BB4_283 Depth=1
	s_mov_b64 s[12:13], 0
	v_mov_b64_e32 v[22:23], 0
	s_mov_b64 s[14:15], 0
.LBB4_334:                              ;   Parent Loop BB4_283 Depth=1
                                        ; =>  This Inner Loop Header: Depth=2
	global_load_ubyte v8, v[4:5], off
	v_mov_b32_e32 v9, s18
	v_add_u32_e32 v24, -1, v24
	v_cmp_eq_u32_e32 vcc, 0, v24
	v_lshl_add_u64 v[4:5], v[4:5], 0, 1
	s_waitcnt vmcnt(0)
	v_and_b32_e32 v8, 0xffff, v8
	v_lshlrev_b64 v[8:9], s14, v[8:9]
	s_add_u32 s14, s14, 8
	s_addc_u32 s15, s15, 0
	v_or_b32_e32 v23, v9, v23
	s_or_b64 s[12:13], vcc, s[12:13]
	v_or_b32_e32 v22, v8, v22
	s_andn2_b64 exec, exec, s[12:13]
	s_cbranch_execnz .LBB4_334
; %bb.335:                              ;   in Loop: Header=BB4_283 Depth=1
	s_or_b64 exec, exec, s[12:13]
.LBB4_336:                              ;   in Loop: Header=BB4_283 Depth=1
	s_or_b64 exec, exec, s[10:11]
                                        ; implicit-def: $vgpr4_vgpr5
.LBB4_337:                              ;   in Loop: Header=BB4_283 Depth=1
	s_andn2_saveexec_b64 s[0:1], s[0:1]
	s_cbranch_execz .LBB4_339
; %bb.338:                              ;   in Loop: Header=BB4_283 Depth=1
	global_load_dwordx2 v[22:23], v[4:5], off
.LBB4_339:                              ;   in Loop: Header=BB4_283 Depth=1
	s_or_b64 exec, exec, s[0:1]
	v_readfirstlane_b32 s0, v50
	v_mov_b64_e32 v[4:5], 0
	s_nop 0
	v_cmp_eq_u32_e64 s[0:1], s0, v50
	s_and_saveexec_b64 s[10:11], s[0:1]
	s_cbranch_execz .LBB4_345
; %bb.340:                              ;   in Loop: Header=BB4_283 Depth=1
	global_load_dwordx2 v[26:27], v35, s[2:3] offset:24 sc0 sc1
	s_waitcnt vmcnt(0)
	buffer_inv sc0 sc1
	global_load_dwordx2 v[4:5], v35, s[2:3] offset:40
	global_load_dwordx2 v[8:9], v35, s[2:3]
	s_waitcnt vmcnt(1)
	v_and_b32_e32 v4, v4, v26
	v_and_b32_e32 v5, v5, v27
	v_mul_lo_u32 v5, v5, 24
	v_mul_hi_u32 v24, v4, 24
	v_add_u32_e32 v5, v24, v5
	v_mul_lo_u32 v4, v4, 24
	s_waitcnt vmcnt(0)
	v_lshl_add_u64 v[4:5], v[8:9], 0, v[4:5]
	global_load_dwordx2 v[24:25], v[4:5], off sc0 sc1
	s_waitcnt vmcnt(0)
	global_atomic_cmpswap_x2 v[4:5], v35, v[24:27], s[2:3] offset:24 sc0 sc1
	s_waitcnt vmcnt(0)
	buffer_inv sc0 sc1
	v_cmp_ne_u64_e32 vcc, v[4:5], v[26:27]
	s_and_saveexec_b64 s[12:13], vcc
	s_cbranch_execz .LBB4_344
; %bb.341:                              ;   in Loop: Header=BB4_283 Depth=1
	s_mov_b64 s[14:15], 0
.LBB4_342:                              ;   Parent Loop BB4_283 Depth=1
                                        ; =>  This Inner Loop Header: Depth=2
	s_sleep 1
	global_load_dwordx2 v[8:9], v35, s[2:3] offset:40
	global_load_dwordx2 v[24:25], v35, s[2:3]
	v_mov_b64_e32 v[26:27], v[4:5]
	s_waitcnt vmcnt(1)
	v_and_b32_e32 v4, v8, v26
	s_waitcnt vmcnt(0)
	v_mad_u64_u32 v[4:5], s[16:17], v4, 24, v[24:25]
	v_and_b32_e32 v9, v9, v27
	v_mov_b32_e32 v8, v5
	v_mad_u64_u32 v[8:9], s[16:17], v9, 24, v[8:9]
	v_mov_b32_e32 v5, v8
	global_load_dwordx2 v[24:25], v[4:5], off sc0 sc1
	s_waitcnt vmcnt(0)
	global_atomic_cmpswap_x2 v[4:5], v35, v[24:27], s[2:3] offset:24 sc0 sc1
	s_waitcnt vmcnt(0)
	buffer_inv sc0 sc1
	v_cmp_eq_u64_e32 vcc, v[4:5], v[26:27]
	s_or_b64 s[14:15], vcc, s[14:15]
	s_andn2_b64 exec, exec, s[14:15]
	s_cbranch_execnz .LBB4_342
; %bb.343:                              ;   in Loop: Header=BB4_283 Depth=1
	s_or_b64 exec, exec, s[14:15]
.LBB4_344:                              ;   in Loop: Header=BB4_283 Depth=1
	s_or_b64 exec, exec, s[12:13]
.LBB4_345:                              ;   in Loop: Header=BB4_283 Depth=1
	s_or_b64 exec, exec, s[10:11]
	global_load_dwordx2 v[8:9], v35, s[2:3] offset:40
	global_load_dwordx4 v[24:27], v35, s[2:3]
	v_readfirstlane_b32 s11, v5
	v_readfirstlane_b32 s10, v4
	s_mov_b64 s[12:13], exec
	s_waitcnt vmcnt(1)
	v_readfirstlane_b32 s14, v8
	v_readfirstlane_b32 s15, v9
	s_and_b64 s[14:15], s[14:15], s[10:11]
	s_mul_i32 s16, s15, 24
	s_mul_hi_u32 s17, s14, 24
	s_add_i32 s17, s17, s16
	s_mul_i32 s16, s14, 24
	s_waitcnt vmcnt(0)
	v_lshl_add_u64 v[4:5], v[24:25], 0, s[16:17]
	s_and_saveexec_b64 s[16:17], s[0:1]
	s_cbranch_execz .LBB4_347
; %bb.346:                              ;   in Loop: Header=BB4_283 Depth=1
	v_mov_b64_e32 v[8:9], s[12:13]
	global_store_dwordx4 v[4:5], v[8:11], off offset:8
.LBB4_347:                              ;   in Loop: Header=BB4_283 Depth=1
	s_or_b64 exec, exec, s[16:17]
	s_lshl_b64 s[12:13], s[14:15], 12
	v_cmp_gt_u64_e32 vcc, 57, v[28:29]
	v_lshl_add_u64 v[8:9], v[26:27], 0, s[12:13]
	v_and_b32_e32 v0, 0xffffff1f, v0
	v_cndmask_b32_e32 v26, 0, v30, vcc
	v_lshl_add_u32 v27, v32, 2, 28
	v_or_b32_e32 v0, v0, v26
	v_and_or_b32 v0, v27, s19, v0
	v_readfirstlane_b32 s12, v8
	v_readfirstlane_b32 s13, v9
	s_nop 4
	global_store_dwordx4 v34, v[0:3], s[12:13]
	global_store_dwordx4 v34, v[12:15], s[12:13] offset:16
	global_store_dwordx4 v34, v[16:19], s[12:13] offset:32
	;; [unrolled: 1-line block ×3, first 2 shown]
	s_and_saveexec_b64 s[12:13], s[0:1]
	s_cbranch_execz .LBB4_355
; %bb.348:                              ;   in Loop: Header=BB4_283 Depth=1
	global_load_dwordx2 v[16:17], v35, s[2:3] offset:32 sc0 sc1
	global_load_dwordx2 v[0:1], v35, s[2:3] offset:40
	v_mov_b32_e32 v14, s10
	v_mov_b32_e32 v15, s11
	s_waitcnt vmcnt(0)
	v_readfirstlane_b32 s14, v0
	v_readfirstlane_b32 s15, v1
	s_and_b64 s[14:15], s[14:15], s[10:11]
	s_mul_i32 s15, s15, 24
	s_mul_hi_u32 s16, s14, 24
	s_mul_i32 s14, s14, 24
	s_add_i32 s15, s16, s15
	v_lshl_add_u64 v[12:13], v[24:25], 0, s[14:15]
	global_store_dwordx2 v[12:13], v[16:17], off
	buffer_wbl2 sc0 sc1
	s_waitcnt vmcnt(0)
	global_atomic_cmpswap_x2 v[2:3], v35, v[14:17], s[2:3] offset:32 sc0 sc1
	s_waitcnt vmcnt(0)
	v_cmp_ne_u64_e32 vcc, v[2:3], v[16:17]
	s_and_saveexec_b64 s[14:15], vcc
	s_cbranch_execz .LBB4_351
; %bb.349:                              ;   in Loop: Header=BB4_283 Depth=1
	s_mov_b64 s[16:17], 0
.LBB4_350:                              ;   Parent Loop BB4_283 Depth=1
                                        ; =>  This Inner Loop Header: Depth=2
	s_sleep 1
	global_store_dwordx2 v[12:13], v[2:3], off
	v_mov_b32_e32 v0, s10
	v_mov_b32_e32 v1, s11
	buffer_wbl2 sc0 sc1
	s_waitcnt vmcnt(0)
	global_atomic_cmpswap_x2 v[0:1], v35, v[0:3], s[2:3] offset:32 sc0 sc1
	s_waitcnt vmcnt(0)
	v_cmp_eq_u64_e32 vcc, v[0:1], v[2:3]
	s_or_b64 s[16:17], vcc, s[16:17]
	v_mov_b64_e32 v[2:3], v[0:1]
	s_andn2_b64 exec, exec, s[16:17]
	s_cbranch_execnz .LBB4_350
.LBB4_351:                              ;   in Loop: Header=BB4_283 Depth=1
	s_or_b64 exec, exec, s[14:15]
	global_load_dwordx2 v[0:1], v35, s[2:3] offset:16
	s_mov_b64 s[16:17], exec
	v_mbcnt_lo_u32_b32 v2, s16, 0
	v_mbcnt_hi_u32_b32 v2, s17, v2
	v_cmp_eq_u32_e32 vcc, 0, v2
	s_and_saveexec_b64 s[14:15], vcc
	s_cbranch_execz .LBB4_353
; %bb.352:                              ;   in Loop: Header=BB4_283 Depth=1
	s_bcnt1_i32_b64 s16, s[16:17]
	v_mov_b32_e32 v2, s16
	v_mov_b32_e32 v3, v35
	buffer_wbl2 sc0 sc1
	s_waitcnt vmcnt(0)
	global_atomic_add_x2 v[0:1], v[2:3], off offset:8 sc1
.LBB4_353:                              ;   in Loop: Header=BB4_283 Depth=1
	s_or_b64 exec, exec, s[14:15]
	s_waitcnt vmcnt(0)
	global_load_dwordx2 v[2:3], v[0:1], off offset:16
	s_waitcnt vmcnt(0)
	v_cmp_eq_u64_e32 vcc, 0, v[2:3]
	s_cbranch_vccnz .LBB4_355
; %bb.354:                              ;   in Loop: Header=BB4_283 Depth=1
	global_load_dword v0, v[0:1], off offset:24
	v_mov_b32_e32 v1, v35
	s_waitcnt vmcnt(0)
	v_readfirstlane_b32 s14, v0
	s_and_b32 m0, s14, 0xffffff
	buffer_wbl2 sc0 sc1
	global_store_dwordx2 v[2:3], v[0:1], off sc0 sc1
	s_sendmsg sendmsg(MSG_INTERRUPT)
.LBB4_355:                              ;   in Loop: Header=BB4_283 Depth=1
	s_or_b64 exec, exec, s[12:13]
	v_lshl_add_u64 v[0:1], v[8:9], 0, v[34:35]
	s_branch .LBB4_359
.LBB4_356:                              ;   in Loop: Header=BB4_359 Depth=2
	s_or_b64 exec, exec, s[12:13]
	v_readfirstlane_b32 s12, v2
	s_cmp_eq_u32 s12, 0
	s_cbranch_scc1 .LBB4_358
; %bb.357:                              ;   in Loop: Header=BB4_359 Depth=2
	s_sleep 1
	s_cbranch_execnz .LBB4_359
	s_branch .LBB4_361
.LBB4_358:                              ;   in Loop: Header=BB4_283 Depth=1
	s_branch .LBB4_361
.LBB4_359:                              ;   Parent Loop BB4_283 Depth=1
                                        ; =>  This Inner Loop Header: Depth=2
	v_mov_b32_e32 v2, 1
	s_and_saveexec_b64 s[12:13], s[0:1]
	s_cbranch_execz .LBB4_356
; %bb.360:                              ;   in Loop: Header=BB4_359 Depth=2
	global_load_dword v2, v[4:5], off offset:20 sc0 sc1
	s_waitcnt vmcnt(0)
	buffer_inv sc0 sc1
	v_and_b32_e32 v2, 1, v2
	s_branch .LBB4_356
.LBB4_361:                              ;   in Loop: Header=BB4_283 Depth=1
	global_load_dwordx2 v[0:1], v[0:1], off
	s_and_saveexec_b64 s[12:13], s[0:1]
	s_cbranch_execz .LBB4_282
; %bb.362:                              ;   in Loop: Header=BB4_283 Depth=1
	global_load_dwordx2 v[2:3], v35, s[2:3] offset:40
	global_load_dwordx2 v[14:15], v35, s[2:3] offset:24 sc0 sc1
	global_load_dwordx2 v[4:5], v35, s[2:3]
	s_waitcnt vmcnt(2)
	v_readfirstlane_b32 s14, v2
	v_readfirstlane_b32 s15, v3
	s_add_u32 s16, s14, 1
	s_addc_u32 s17, s15, 0
	s_add_u32 s0, s16, s10
	s_addc_u32 s1, s17, s11
	s_cmp_eq_u64 s[0:1], 0
	s_cselect_b32 s1, s17, s1
	s_cselect_b32 s0, s16, s0
	s_and_b64 s[10:11], s[0:1], s[14:15]
	s_mul_i32 s11, s11, 24
	s_mul_hi_u32 s14, s10, 24
	s_mul_i32 s10, s10, 24
	s_add_i32 s11, s14, s11
	s_waitcnt vmcnt(0)
	v_lshl_add_u64 v[8:9], v[4:5], 0, s[10:11]
	v_mov_b32_e32 v12, s0
	global_store_dwordx2 v[8:9], v[14:15], off
	v_mov_b32_e32 v13, s1
	buffer_wbl2 sc0 sc1
	s_waitcnt vmcnt(0)
	global_atomic_cmpswap_x2 v[4:5], v35, v[12:15], s[2:3] offset:24 sc0 sc1
	s_waitcnt vmcnt(0)
	v_cmp_ne_u64_e32 vcc, v[4:5], v[14:15]
	s_and_b64 exec, exec, vcc
	s_cbranch_execz .LBB4_282
; %bb.363:                              ;   in Loop: Header=BB4_283 Depth=1
	s_mov_b64 s[10:11], 0
.LBB4_364:                              ;   Parent Loop BB4_283 Depth=1
                                        ; =>  This Inner Loop Header: Depth=2
	s_sleep 1
	global_store_dwordx2 v[8:9], v[4:5], off
	v_mov_b32_e32 v2, s0
	v_mov_b32_e32 v3, s1
	buffer_wbl2 sc0 sc1
	s_waitcnt vmcnt(0)
	global_atomic_cmpswap_x2 v[2:3], v35, v[2:5], s[2:3] offset:24 sc0 sc1
	s_waitcnt vmcnt(0)
	v_cmp_eq_u64_e32 vcc, v[2:3], v[4:5]
	s_or_b64 s[10:11], vcc, s[10:11]
	v_mov_b64_e32 v[4:5], v[2:3]
	s_andn2_b64 exec, exec, s[10:11]
	s_cbranch_execnz .LBB4_364
	s_branch .LBB4_282
.LBB4_365:
	s_or_b64 exec, exec, s[4:5]
                                        ; implicit-def: $vgpr34
                                        ; implicit-def: $vgpr50
.LBB4_366:
	s_andn2_saveexec_b64 s[4:5], s[6:7]
	s_cbranch_execz .LBB4_393
; %bb.367:
	v_readfirstlane_b32 s0, v50
	v_mov_b64_e32 v[2:3], 0
	s_nop 0
	v_cmp_eq_u32_e64 s[0:1], s0, v50
	s_and_saveexec_b64 s[6:7], s[0:1]
	s_cbranch_execz .LBB4_373
; %bb.368:
	v_mov_b32_e32 v4, 0
	global_load_dwordx2 v[10:11], v4, s[2:3] offset:24 sc0 sc1
	s_waitcnt vmcnt(0)
	buffer_inv sc0 sc1
	global_load_dwordx2 v[2:3], v4, s[2:3] offset:40
	global_load_dwordx2 v[8:9], v4, s[2:3]
	s_waitcnt vmcnt(1)
	v_and_b32_e32 v2, v2, v10
	v_and_b32_e32 v3, v3, v11
	v_mul_lo_u32 v3, v3, 24
	v_mul_hi_u32 v5, v2, 24
	v_add_u32_e32 v3, v5, v3
	v_mul_lo_u32 v2, v2, 24
	s_waitcnt vmcnt(0)
	v_lshl_add_u64 v[2:3], v[8:9], 0, v[2:3]
	global_load_dwordx2 v[8:9], v[2:3], off sc0 sc1
	s_waitcnt vmcnt(0)
	global_atomic_cmpswap_x2 v[2:3], v4, v[8:11], s[2:3] offset:24 sc0 sc1
	s_waitcnt vmcnt(0)
	buffer_inv sc0 sc1
	v_cmp_ne_u64_e32 vcc, v[2:3], v[10:11]
	s_and_saveexec_b64 s[10:11], vcc
	s_cbranch_execz .LBB4_372
; %bb.369:
	s_mov_b64 s[12:13], 0
.LBB4_370:                              ; =>This Inner Loop Header: Depth=1
	s_sleep 1
	global_load_dwordx2 v[8:9], v4, s[2:3] offset:40
	global_load_dwordx2 v[12:13], v4, s[2:3]
	v_mov_b64_e32 v[10:11], v[2:3]
	s_waitcnt vmcnt(1)
	v_and_b32_e32 v2, v8, v10
	s_waitcnt vmcnt(0)
	v_mad_u64_u32 v[2:3], s[14:15], v2, 24, v[12:13]
	v_and_b32_e32 v5, v9, v11
	v_mov_b32_e32 v8, v3
	v_mad_u64_u32 v[8:9], s[14:15], v5, 24, v[8:9]
	v_mov_b32_e32 v3, v8
	global_load_dwordx2 v[8:9], v[2:3], off sc0 sc1
	s_waitcnt vmcnt(0)
	global_atomic_cmpswap_x2 v[2:3], v4, v[8:11], s[2:3] offset:24 sc0 sc1
	s_waitcnt vmcnt(0)
	buffer_inv sc0 sc1
	v_cmp_eq_u64_e32 vcc, v[2:3], v[10:11]
	s_or_b64 s[12:13], vcc, s[12:13]
	s_andn2_b64 exec, exec, s[12:13]
	s_cbranch_execnz .LBB4_370
; %bb.371:
	s_or_b64 exec, exec, s[12:13]
.LBB4_372:
	s_or_b64 exec, exec, s[10:11]
.LBB4_373:
	s_or_b64 exec, exec, s[6:7]
	v_mov_b32_e32 v35, 0
	global_load_dwordx2 v[4:5], v35, s[2:3] offset:40
	global_load_dwordx4 v[8:11], v35, s[2:3]
	v_readfirstlane_b32 s7, v3
	v_readfirstlane_b32 s6, v2
	s_mov_b64 s[10:11], exec
	s_waitcnt vmcnt(1)
	v_readfirstlane_b32 s12, v4
	v_readfirstlane_b32 s13, v5
	s_and_b64 s[12:13], s[12:13], s[6:7]
	s_mul_i32 s14, s13, 24
	s_mul_hi_u32 s15, s12, 24
	s_add_i32 s15, s15, s14
	s_mul_i32 s14, s12, 24
	s_waitcnt vmcnt(0)
	v_lshl_add_u64 v[4:5], v[8:9], 0, s[14:15]
	s_and_saveexec_b64 s[14:15], s[0:1]
	s_cbranch_execz .LBB4_375
; %bb.374:
	v_mov_b64_e32 v[12:13], s[10:11]
	v_mov_b32_e32 v14, 2
	v_mov_b32_e32 v15, 1
	global_store_dwordx4 v[4:5], v[12:15], off offset:8
.LBB4_375:
	s_or_b64 exec, exec, s[14:15]
	s_lshl_b64 s[10:11], s[12:13], 12
	v_lshl_add_u64 v[10:11], v[10:11], 0, s[10:11]
	s_movk_i32 s10, 0xff1f
	s_mov_b32 s12, 0
	v_and_or_b32 v0, v0, s10, 32
	v_mov_b32_e32 v2, v35
	v_mov_b32_e32 v3, v35
	v_readfirstlane_b32 s10, v10
	v_readfirstlane_b32 s11, v11
	s_mov_b32 s13, s12
	s_mov_b32 s14, s12
	;; [unrolled: 1-line block ×3, first 2 shown]
	s_nop 1
	global_store_dwordx4 v34, v[0:3], s[10:11]
	s_nop 1
	v_mov_b64_e32 v[0:1], s[12:13]
	v_mov_b64_e32 v[2:3], s[14:15]
	global_store_dwordx4 v34, v[0:3], s[10:11] offset:16
	global_store_dwordx4 v34, v[0:3], s[10:11] offset:32
	;; [unrolled: 1-line block ×3, first 2 shown]
	s_and_saveexec_b64 s[10:11], s[0:1]
	s_cbranch_execz .LBB4_383
; %bb.376:
	v_mov_b32_e32 v12, 0
	global_load_dwordx2 v[16:17], v12, s[2:3] offset:32 sc0 sc1
	global_load_dwordx2 v[0:1], v12, s[2:3] offset:40
	v_mov_b32_e32 v14, s6
	v_mov_b32_e32 v15, s7
	s_waitcnt vmcnt(0)
	v_readfirstlane_b32 s12, v0
	v_readfirstlane_b32 s13, v1
	s_and_b64 s[12:13], s[12:13], s[6:7]
	s_mul_i32 s13, s13, 24
	s_mul_hi_u32 s14, s12, 24
	s_mul_i32 s12, s12, 24
	s_add_i32 s13, s14, s13
	v_lshl_add_u64 v[8:9], v[8:9], 0, s[12:13]
	global_store_dwordx2 v[8:9], v[16:17], off
	buffer_wbl2 sc0 sc1
	s_waitcnt vmcnt(0)
	global_atomic_cmpswap_x2 v[2:3], v12, v[14:17], s[2:3] offset:32 sc0 sc1
	s_waitcnt vmcnt(0)
	v_cmp_ne_u64_e32 vcc, v[2:3], v[16:17]
	s_and_saveexec_b64 s[12:13], vcc
	s_cbranch_execz .LBB4_379
; %bb.377:
	s_mov_b64 s[14:15], 0
.LBB4_378:                              ; =>This Inner Loop Header: Depth=1
	s_sleep 1
	global_store_dwordx2 v[8:9], v[2:3], off
	v_mov_b32_e32 v0, s6
	v_mov_b32_e32 v1, s7
	buffer_wbl2 sc0 sc1
	s_waitcnt vmcnt(0)
	global_atomic_cmpswap_x2 v[0:1], v12, v[0:3], s[2:3] offset:32 sc0 sc1
	s_waitcnt vmcnt(0)
	v_cmp_eq_u64_e32 vcc, v[0:1], v[2:3]
	s_or_b64 s[14:15], vcc, s[14:15]
	v_mov_b64_e32 v[2:3], v[0:1]
	s_andn2_b64 exec, exec, s[14:15]
	s_cbranch_execnz .LBB4_378
.LBB4_379:
	s_or_b64 exec, exec, s[12:13]
	v_mov_b32_e32 v3, 0
	global_load_dwordx2 v[0:1], v3, s[2:3] offset:16
	s_mov_b64 s[12:13], exec
	v_mbcnt_lo_u32_b32 v2, s12, 0
	v_mbcnt_hi_u32_b32 v2, s13, v2
	v_cmp_eq_u32_e32 vcc, 0, v2
	s_and_saveexec_b64 s[14:15], vcc
	s_cbranch_execz .LBB4_381
; %bb.380:
	s_bcnt1_i32_b64 s12, s[12:13]
	v_mov_b32_e32 v2, s12
	buffer_wbl2 sc0 sc1
	s_waitcnt vmcnt(0)
	global_atomic_add_x2 v[0:1], v[2:3], off offset:8 sc1
.LBB4_381:
	s_or_b64 exec, exec, s[14:15]
	s_waitcnt vmcnt(0)
	global_load_dwordx2 v[2:3], v[0:1], off offset:16
	s_waitcnt vmcnt(0)
	v_cmp_eq_u64_e32 vcc, 0, v[2:3]
	s_cbranch_vccnz .LBB4_383
; %bb.382:
	global_load_dword v0, v[0:1], off offset:24
	v_mov_b32_e32 v1, 0
	s_waitcnt vmcnt(0)
	v_readfirstlane_b32 s12, v0
	s_and_b32 m0, s12, 0xffffff
	buffer_wbl2 sc0 sc1
	global_store_dwordx2 v[2:3], v[0:1], off sc0 sc1
	s_sendmsg sendmsg(MSG_INTERRUPT)
.LBB4_383:
	s_or_b64 exec, exec, s[10:11]
	v_lshl_add_u64 v[0:1], v[10:11], 0, v[34:35]
	s_branch .LBB4_387
.LBB4_384:                              ;   in Loop: Header=BB4_387 Depth=1
	s_or_b64 exec, exec, s[10:11]
	v_readfirstlane_b32 s10, v2
	s_cmp_eq_u32 s10, 0
	s_cbranch_scc1 .LBB4_386
; %bb.385:                              ;   in Loop: Header=BB4_387 Depth=1
	s_sleep 1
	s_cbranch_execnz .LBB4_387
	s_branch .LBB4_389
.LBB4_386:
	s_branch .LBB4_389
.LBB4_387:                              ; =>This Inner Loop Header: Depth=1
	v_mov_b32_e32 v2, 1
	s_and_saveexec_b64 s[10:11], s[0:1]
	s_cbranch_execz .LBB4_384
; %bb.388:                              ;   in Loop: Header=BB4_387 Depth=1
	global_load_dword v2, v[4:5], off offset:20 sc0 sc1
	s_waitcnt vmcnt(0)
	buffer_inv sc0 sc1
	v_and_b32_e32 v2, 1, v2
	s_branch .LBB4_384
.LBB4_389:
	global_load_dwordx2 v[0:1], v[0:1], off
	s_and_saveexec_b64 s[10:11], s[0:1]
	s_cbranch_execz .LBB4_392
; %bb.390:
	v_mov_b32_e32 v10, 0
	global_load_dwordx2 v[2:3], v10, s[2:3] offset:40
	global_load_dwordx2 v[14:15], v10, s[2:3] offset:24 sc0 sc1
	global_load_dwordx2 v[4:5], v10, s[2:3]
	s_waitcnt vmcnt(2)
	v_readfirstlane_b32 s12, v2
	v_readfirstlane_b32 s13, v3
	s_add_u32 s14, s12, 1
	s_addc_u32 s15, s13, 0
	s_add_u32 s0, s14, s6
	s_addc_u32 s1, s15, s7
	s_cmp_eq_u64 s[0:1], 0
	s_cselect_b32 s1, s15, s1
	s_cselect_b32 s0, s14, s0
	s_and_b64 s[6:7], s[0:1], s[12:13]
	s_mul_i32 s7, s7, 24
	s_mul_hi_u32 s12, s6, 24
	s_mul_i32 s6, s6, 24
	s_add_i32 s7, s12, s7
	s_waitcnt vmcnt(0)
	v_lshl_add_u64 v[8:9], v[4:5], 0, s[6:7]
	v_mov_b32_e32 v12, s0
	global_store_dwordx2 v[8:9], v[14:15], off
	v_mov_b32_e32 v13, s1
	buffer_wbl2 sc0 sc1
	s_waitcnt vmcnt(0)
	global_atomic_cmpswap_x2 v[4:5], v10, v[12:15], s[2:3] offset:24 sc0 sc1
	s_mov_b64 s[6:7], 0
	s_waitcnt vmcnt(0)
	v_cmp_ne_u64_e32 vcc, v[4:5], v[14:15]
	s_and_b64 exec, exec, vcc
	s_cbranch_execz .LBB4_392
.LBB4_391:                              ; =>This Inner Loop Header: Depth=1
	s_sleep 1
	global_store_dwordx2 v[8:9], v[4:5], off
	v_mov_b32_e32 v2, s0
	v_mov_b32_e32 v3, s1
	buffer_wbl2 sc0 sc1
	s_waitcnt vmcnt(0)
	global_atomic_cmpswap_x2 v[2:3], v10, v[2:5], s[2:3] offset:24 sc0 sc1
	s_waitcnt vmcnt(0)
	v_cmp_eq_u64_e32 vcc, v[2:3], v[4:5]
	s_or_b64 s[6:7], vcc, s[6:7]
	v_mov_b64_e32 v[4:5], v[2:3]
	s_andn2_b64 exec, exec, s[6:7]
	s_cbranch_execnz .LBB4_391
.LBB4_392:
	s_or_b64 exec, exec, s[10:11]
.LBB4_393:
	s_or_b64 exec, exec, s[4:5]
	s_mov_b64 s[0:1], 0
	v_mov_b64_e32 v[2:3], v[6:7]
.LBB4_394:                              ; =>This Inner Loop Header: Depth=1
	global_load_ubyte v4, v[2:3], off
	v_lshl_add_u64 v[2:3], v[2:3], 0, 1
	s_waitcnt vmcnt(0)
	v_cmp_eq_u16_e32 vcc, 0, v4
	s_or_b64 s[0:1], vcc, s[0:1]
	s_andn2_b64 exec, exec, s[0:1]
	s_cbranch_execnz .LBB4_394
; %bb.395:
	s_or_b64 exec, exec, s[0:1]
	v_sub_u32_e32 v4, v2, v6
	v_ashrrev_i32_e32 v5, 31, v4
	s_getpc_b64 s[0:1]
	s_add_u32 s0, s0, __ockl_fprintf_append_string_n@rel32@lo+4
	s_addc_u32 s1, s1, __ockl_fprintf_append_string_n@rel32@hi+12
	v_mov_b32_e32 v2, v6
	v_mov_b32_e32 v3, v7
	;; [unrolled: 1-line block ×3, first 2 shown]
	s_swappc_b64 s[30:31], s[0:1]
	s_trap 2
.Lfunc_end4:
	.size	__assert_fail, .Lfunc_end4-__assert_fail
                                        ; -- End function
	.set .L__assert_fail.num_vgpr, max(51, .L__ockl_fprintf_append_string_n.num_vgpr)
	.set .L__assert_fail.num_agpr, max(0, .L__ockl_fprintf_append_string_n.num_agpr)
	.set .L__assert_fail.numbered_sgpr, max(34, .L__ockl_fprintf_append_string_n.numbered_sgpr)
	.set .L__assert_fail.num_named_barrier, max(0, .L__ockl_fprintf_append_string_n.num_named_barrier)
	.set .L__assert_fail.private_seg_size, 64+max(.L__ockl_fprintf_append_string_n.private_seg_size)
	.set .L__assert_fail.uses_vcc, or(1, .L__ockl_fprintf_append_string_n.uses_vcc)
	.set .L__assert_fail.uses_flat_scratch, or(0, .L__ockl_fprintf_append_string_n.uses_flat_scratch)
	.set .L__assert_fail.has_dyn_sized_stack, or(0, .L__ockl_fprintf_append_string_n.has_dyn_sized_stack)
	.set .L__assert_fail.has_recursion, or(0, .L__ockl_fprintf_append_string_n.has_recursion)
	.set .L__assert_fail.has_indirect_call, or(0, .L__ockl_fprintf_append_string_n.has_indirect_call)
	.section	.AMDGPU.csdata,"",@progbits
; Function info:
; codeLenInByte = 13468
; TotalNumSgprs: 40
; NumVgprs: 51
; NumAgprs: 0
; TotalNumVgprs: 51
; ScratchSize: 64
; MemoryBound: 0
	.text
	.p2align	2                               ; -- Begin function _Z4EvaliPiiPN2rw7LibraryEi
	.type	_Z4EvaliPiiPN2rw7LibraryEi,@function
_Z4EvaliPiiPN2rw7LibraryEi:             ; @_Z4EvaliPiiPN2rw7LibraryEi
; %bb.0:
	s_waitcnt vmcnt(0) expcnt(0) lgkmcnt(0)
	s_mov_b32 s0, s33
	s_mov_b32 s33, s32
	s_or_saveexec_b64 s[2:3], -1
	scratch_store_dword off, v45, s33 offset:52 ; 4-byte Folded Spill
	s_mov_b64 exec, s[2:3]
	v_writelane_b32 v45, s0, 6
	s_add_i32 s32, s32, 64
	scratch_store_dword off, v40, s33 offset:48 ; 4-byte Folded Spill
	scratch_store_dword off, v41, s33 offset:44 ; 4-byte Folded Spill
	;; [unrolled: 1-line block ×12, first 2 shown]
	scratch_store_dword off, v61, s33       ; 4-byte Folded Spill
	v_writelane_b32 v45, s34, 0
	v_writelane_b32 v45, s35, 1
	v_writelane_b32 v45, s36, 2
	v_writelane_b32 v45, s37, 3
	v_writelane_b32 v45, s30, 4
	s_nop 1
	v_writelane_b32 v45, s31, 5
	v_mov_b32_e32 v47, v2
	v_mov_b32_e32 v46, v1
	v_ashrrev_i32_e32 v1, 31, v0
	v_mov_b32_e32 v41, v5
	v_mov_b32_e32 v40, v4
	v_lshl_add_u64 v[4:5], v[0:1], 2, v[46:47]
	flat_load_dword v1, v[4:5]
	v_mov_b32_e32 v42, v6
	v_mov_b32_e32 v43, v3
	;; [unrolled: 1-line block ×3, first 2 shown]
	s_waitcnt vmcnt(0) lgkmcnt(0)
	v_cmp_gt_i32_e32 vcc, 0, v1
	v_cmp_ne_u32_e64 s[0:1], v1, v42
	s_and_b64 s[0:1], vcc, s[0:1]
	s_and_saveexec_b64 s[34:35], s[0:1]
	s_cbranch_execz .LBB5_4
; %bb.1:
	s_movk_i32 s0, 0xf0
	v_mad_i64_i32 v[2:3], s[0:1], v43, s0, v[40:41]
	s_mov_b64 s[0:1], 0xc4dd0
	s_nop 0
	v_lshl_add_u64 v[56:57], v[2:3], 0, s[0:1]
	s_mov_b64 s[0:1], 0xd1df0
	v_lshl_add_u64 v[58:59], v[2:3], 0, s[0:1]
	v_mov_b32_e32 v44, 0
	s_mov_b64 s[36:37], 0
.LBB5_2:                                ; =>This Inner Loop Header: Depth=1
	v_ashrrev_i32_e32 v1, 31, v0
	v_lshl_add_u64 v[60:61], v[0:1], 2, -16
	flat_store_dword v[4:5], v42
	v_lshl_add_u64 v[0:1], v[56:57], 0, v[60:61]
	flat_load_dword v0, v[0:1]
	s_getpc_b64 s[0:1]
	s_add_u32 s0, s0, _Z4EvaliPiiPN2rw7LibraryEi@rel32@lo+4
	s_addc_u32 s1, s1, _Z4EvaliPiiPN2rw7LibraryEi@rel32@hi+12
	v_mov_b32_e32 v1, v46
	v_mov_b32_e32 v2, v47
	;; [unrolled: 1-line block ×6, first 2 shown]
	s_swappc_b64 s[30:31], s[0:1]
	v_mov_b32_e32 v2, v0
	v_lshl_add_u64 v[0:1], v[58:59], 0, v[60:61]
	flat_load_dword v0, v[0:1]
	v_add3_u32 v44, v44, v2, 1
	s_waitcnt vmcnt(0) lgkmcnt(0)
	v_ashrrev_i32_e32 v1, 31, v0
	v_lshl_add_u64 v[4:5], v[0:1], 2, v[46:47]
	flat_load_dword v1, v[4:5]
	s_waitcnt vmcnt(0) lgkmcnt(0)
	v_cmp_lt_i32_e32 vcc, -1, v1
	v_cmp_eq_u32_e64 s[0:1], v1, v42
	s_or_b64 s[0:1], vcc, s[0:1]
	s_and_b64 s[0:1], exec, s[0:1]
	s_or_b64 s[36:37], s[0:1], s[36:37]
	s_andn2_b64 exec, exec, s[36:37]
	s_cbranch_execnz .LBB5_2
; %bb.3:
	s_or_b64 exec, exec, s[36:37]
.LBB5_4:
	s_or_b64 exec, exec, s[34:35]
	v_mov_b32_e32 v0, v44
	scratch_load_dword v61, off, s33        ; 4-byte Folded Reload
	scratch_load_dword v60, off, s33 offset:4 ; 4-byte Folded Reload
	scratch_load_dword v59, off, s33 offset:8 ; 4-byte Folded Reload
	;; [unrolled: 1-line block ×12, first 2 shown]
	v_readlane_b32 s30, v45, 4
	v_readlane_b32 s31, v45, 5
	;; [unrolled: 1-line block ×6, first 2 shown]
	s_mov_b32 s32, s33
	v_readlane_b32 s0, v45, 6
	s_or_saveexec_b64 s[2:3], -1
	scratch_load_dword v45, off, s33 offset:52 ; 4-byte Folded Reload
	s_mov_b64 exec, s[2:3]
	s_mov_b32 s33, s0
	s_waitcnt vmcnt(0)
	s_setpc_b64 s[30:31]
.Lfunc_end5:
	.size	_Z4EvaliPiiPN2rw7LibraryEi, .Lfunc_end5-_Z4EvaliPiiPN2rw7LibraryEi
                                        ; -- End function
	.set .L_Z4EvaliPiiPN2rw7LibraryEi.num_vgpr, 62
	.set .L_Z4EvaliPiiPN2rw7LibraryEi.num_agpr, 0
	.set .L_Z4EvaliPiiPN2rw7LibraryEi.numbered_sgpr, 38
	.set .L_Z4EvaliPiiPN2rw7LibraryEi.num_named_barrier, 0
	.set .L_Z4EvaliPiiPN2rw7LibraryEi.private_seg_size, 64
	.set .L_Z4EvaliPiiPN2rw7LibraryEi.uses_vcc, 1
	.set .L_Z4EvaliPiiPN2rw7LibraryEi.uses_flat_scratch, 0
	.set .L_Z4EvaliPiiPN2rw7LibraryEi.has_dyn_sized_stack, 0
	.set .L_Z4EvaliPiiPN2rw7LibraryEi.has_recursion, 1
	.set .L_Z4EvaliPiiPN2rw7LibraryEi.has_indirect_call, 0
	.section	.AMDGPU.csdata,"",@progbits
; Function info:
; codeLenInByte = 704
; TotalNumSgprs: 44
; NumVgprs: 62
; NumAgprs: 0
; TotalNumVgprs: 62
; ScratchSize: 64
; MemoryBound: 0
	.text
	.protected	_Z12EvaluateNodeiPiS_S_S_S_S_PN2rw3CutES2_S_PNS0_7LibraryEPNS0_9TableNodeEi ; -- Begin function _Z12EvaluateNodeiPiS_S_S_S_S_PN2rw3CutES2_S_PNS0_7LibraryEPNS0_9TableNodeEi
	.globl	_Z12EvaluateNodeiPiS_S_S_S_S_PN2rw3CutES2_S_PNS0_7LibraryEPNS0_9TableNodeEi
	.p2align	8
	.type	_Z12EvaluateNodeiPiS_S_S_S_S_PN2rw3CutES2_S_PNS0_7LibraryEPNS0_9TableNodeEi,@function
_Z12EvaluateNodeiPiS_S_S_S_S_PN2rw3CutES2_S_PNS0_7LibraryEPNS0_9TableNodeEi: ; @_Z12EvaluateNodeiPiS_S_S_S_S_PN2rw3CutES2_S_PNS0_7LibraryEPNS0_9TableNodeEi
; %bb.0:
	s_load_dword s3, s[0:1], 0x74
	s_load_dword s4, s[0:1], 0x0
	s_movk_i32 s32, 0x200
	s_waitcnt lgkmcnt(0)
	s_and_b32 s3, s3, 0xffff
	s_mul_i32 s2, s2, s3
	v_add_u32_e32 v46, s2, v0
	v_cmp_gt_u32_e32 vcc, s4, v46
	s_and_saveexec_b64 s[2:3], vcc
	s_cbranch_execz .LBB6_72
; %bb.1:
	s_mov_b64 s[2:3], src_private_base
                                        ; implicit-def: $vgpr78 : SGPR spill to VGPR lane
	s_load_dwordx4 s[20:23], s[0:1], 0x48
	s_load_dwordx2 s[66:67], s[0:1], 0x58
	v_writelane_b32 v78, s2, 0
	v_add_u32_e32 v40, 1, v46
	v_lshlrev_b32_e32 v43, 3, v40
	v_writelane_b32 v78, s3, 1
	v_writelane_b32 v78, s0, 2
	s_load_dwordx16 s[4:19], s[0:1], 0x8
	s_mov_b32 s85, 0
	v_writelane_b32 v78, s1, 3
	s_waitcnt lgkmcnt(0)
	s_add_u32 s0, s22, 0x80180
	s_addc_u32 s1, s23, 0
	v_writelane_b32 v78, s4, 4
	v_mov_b32_e32 v57, 0x5f5e0ff
	v_mov_b32_e32 v56, -1
	v_writelane_b32 v78, s5, 5
	v_writelane_b32 v78, s6, 6
	v_writelane_b32 v78, s7, 7
	v_writelane_b32 v78, s8, 8
	v_writelane_b32 v78, s9, 9
	v_writelane_b32 v78, s10, 10
	v_writelane_b32 v78, s11, 11
	v_writelane_b32 v78, s12, 12
	v_writelane_b32 v78, s13, 13
	v_writelane_b32 v78, s14, 14
	v_writelane_b32 v78, s15, 15
	v_writelane_b32 v78, s16, 16
	v_writelane_b32 v78, s17, 17
	v_writelane_b32 v78, s18, 18
	v_writelane_b32 v78, s19, 19
	v_writelane_b32 v78, s0, 20
	s_mov_b64 s[86:87], 0
	v_mov_b32_e32 v62, 0
	v_writelane_b32 v78, s1, 21
	s_add_u32 s0, s22, 0x80000
	s_addc_u32 s1, s23, 0
	v_writelane_b32 v78, s0, 22
	v_mov_b32_e32 v58, 2
	v_mov_b32_e32 v59, 0x120
	v_writelane_b32 v78, s1, 23
	s_add_u32 s0, s22, 0x40000
	s_addc_u32 s1, s23, 0
	v_writelane_b32 v78, s0, 24
	v_mov_b32_e32 v60, 0
	v_mov_b32_e32 v47, -1
	v_writelane_b32 v78, s1, 25
	s_add_u32 s0, s22, 0xc0180
	s_addc_u32 s1, s23, 0
	v_writelane_b32 v78, s0, 26
	s_mov_b32 s82, 0
                                        ; implicit-def: $sgpr96_sgpr97
                                        ; implicit-def: $sgpr98_sgpr99
                                        ; implicit-def: $sgpr68_sgpr69
                                        ; implicit-def: $sgpr70_sgpr71
                                        ; implicit-def: $vgpr44
	s_nop 0
	v_writelane_b32 v78, s1, 27
	s_add_u32 s0, s22, 0xc4dd0
	s_addc_u32 s1, s23, 0
	v_writelane_b32 v78, s0, 28
	s_nop 1
	v_writelane_b32 v78, s1, 29
	s_add_u32 s0, s22, 0xd1df0
	s_addc_u32 s1, s23, 0
	v_writelane_b32 v78, s0, 30
	;; [unrolled: 5-line block ×5, first 2 shown]
	s_nop 1
	v_writelane_b32 v78, s1, 37
	s_add_u32 s0, s22, 0xc0870
	v_writelane_b32 v78, s20, 38
	s_addc_u32 s1, s23, 0
	s_nop 0
	v_writelane_b32 v78, s21, 39
	v_writelane_b32 v78, s22, 40
	;; [unrolled: 1-line block ×4, first 2 shown]
	s_nop 1
	v_writelane_b32 v78, s1, 43
	s_mov_b32 s0, -1
	v_writelane_b32 v78, s0, 44
	s_nop 1
	v_writelane_b32 v78, s1, 45
	v_writelane_b32 v78, s2, 46
	;; [unrolled: 1-line block ×3, first 2 shown]
	s_branch .LBB6_3
.LBB6_2:                                ;   in Loop: Header=BB6_3 Depth=1
	s_or_b64 exec, exec, s[0:1]
	s_and_b64 s[0:1], exec, s[4:5]
	s_or_b64 s[86:87], s[0:1], s[86:87]
	s_andn2_b64 s[0:1], s[98:99], exec
	s_and_b64 s[2:3], s[70:71], exec
	s_or_b64 s[98:99], s[0:1], s[2:3]
	s_andn2_b64 s[0:1], s[96:97], exec
	s_and_b64 s[2:3], s[68:69], exec
	s_or_b64 s[96:97], s[0:1], s[2:3]
	s_andn2_b64 exec, exec, s[86:87]
	s_cbranch_execz .LBB6_68
.LBB6_3:                                ; =>This Loop Header: Depth=1
                                        ;     Child Loop BB6_12 Depth 2
                                        ;       Child Loop BB6_25 Depth 3
                                        ;       Child Loop BB6_38 Depth 3
                                        ;     Child Loop BB6_50 Depth 2
	v_readlane_b32 s0, v78, 4
	v_or_b32_e32 v0, s82, v43
	v_readlane_b32 s1, v78, 5
	v_readlane_b32 s12, v78, 16
	;; [unrolled: 1-line block ×5, first 2 shown]
	v_mad_i64_i32 v[76:77], s[0:1], v0, 28, s[12:13]
	global_load_ubyte v0, v[76:77], off offset:24
	v_readlane_b32 s6, v78, 10
	v_readlane_b32 s7, v78, 11
	s_mov_b64 s[2:3], -1
	v_readlane_b32 s4, v78, 8
	v_readlane_b32 s5, v78, 9
	;; [unrolled: 1-line block ×8, first 2 shown]
                                        ; implicit-def: $sgpr6_sgpr7
                                        ; implicit-def: $sgpr0_sgpr1
	s_waitcnt vmcnt(0)
	v_cmp_ne_u16_e32 vcc, 0, v0
	s_and_saveexec_b64 s[80:81], vcc
	s_cbranch_execz .LBB6_66
; %bb.4:                                ;   in Loop: Header=BB6_3 Depth=1
	global_load_dword v63, v[76:77], off offset:20
                                        ; implicit-def: $sgpr6_sgpr7
                                        ; implicit-def: $sgpr0_sgpr1
	s_waitcnt vmcnt(0)
	v_bfe_u32 v61, v63, 27, 4
	v_cmp_gt_u32_e64 s[4:5], 3, v61
	v_cmp_lt_u32_e32 vcc, 2, v61
	s_mov_b64 s[2:3], exec
	v_writelane_b32 v78, s2, 48
	s_nop 1
	v_writelane_b32 v78, s3, 49
	s_and_b64 s[2:3], s[2:3], vcc
	s_mov_b64 exec, s[2:3]
	s_cbranch_execz .LBB6_65
; %bb.5:                                ;   in Loop: Header=BB6_3 Depth=1
	v_writelane_b32 v78, s4, 50
	v_cmp_eq_u32_e32 vcc, 3, v61
	s_nop 0
	v_writelane_b32 v78, s5, 51
	s_and_saveexec_b64 s[0:1], vcc
	s_cbranch_execz .LBB6_7
; %bb.6:                                ;   in Loop: Header=BB6_3 Depth=1
	v_and_b32_e32 v0, 0x87ffffff, v63
	v_or_b32_e32 v63, 0x20000000, v0
	global_store_dwordx2 v[76:77], v[62:63], off offset:16
.LBB6_7:                                ;   in Loop: Header=BB6_3 Depth=1
	s_or_b64 exec, exec, s[0:1]
	v_readlane_b32 s4, v78, 4
	v_readlane_b32 s5, v78, 5
	;; [unrolled: 1-line block ×5, first 2 shown]
	v_mov_b32_e32 v3, s6
	v_mov_b32_e32 v4, s7
	v_readlane_b32 s4, v78, 38
	v_readlane_b32 s8, v78, 8
	;; [unrolled: 1-line block ×5, first 2 shown]
	s_getpc_b64 s[0:1]
	s_add_u32 s0, s0, _Z8CalcMFFCiPN2rw3CutEPiS2_S2_S2_S2_S2_i@rel32@lo+4
	s_addc_u32 s1, s1, _Z8CalcMFFCiPN2rw3CutEPiS2_S2_S2_S2_S2_i@rel32@hi+12
	v_mov_b32_e32 v0, v40
	v_mov_b32_e32 v1, v76
	;; [unrolled: 1-line block ×13, first 2 shown]
	scratch_store_dword off, v62, off offset:216
	v_readlane_b32 s10, v78, 10
	v_readlane_b32 s11, v78, 11
	;; [unrolled: 1-line block ×12, first 2 shown]
	s_swappc_b64 s[30:31], s[0:1]
	v_readlane_b32 s0, v78, 24
	v_mov_b32_e32 v41, v0
	v_lshlrev_b32_sdwa v0, v58, v63 dst_sel:DWORD dst_unused:UNUSED_PAD src0_sel:DWORD src1_sel:WORD_0
	v_readlane_b32 s1, v78, 25
	s_nop 4
	global_load_dword v2, v0, s[0:1]
	v_readlane_b32 s0, v78, 20
	v_readlane_b32 s1, v78, 21
	s_waitcnt vmcnt(0)
	v_ashrrev_i32_e32 v3, 31, v2
	s_nop 2
	global_load_dword v72, v0, s[0:1]
	v_readlane_b32 s0, v78, 22
	v_readlane_b32 s1, v78, 23
	s_waitcnt vmcnt(0)
	v_ashrrev_i32_e32 v73, 31, v72
	v_lshl_add_u64 v[2:3], v[2:3], 4, s[0:1]
	global_load_dwordx4 v[2:5], v[2:3], off
	v_readlane_b32 s0, v78, 26
	v_readlane_b32 s1, v78, 27
	s_nop 1
	v_lshl_add_u64 v[6:7], v[72:73], 2, s[0:1]
	global_load_dword v16, v[6:7], off
	v_readlane_b32 s0, v78, 4
	v_readlane_b32 s10, v78, 14
	;; [unrolled: 1-line block ×20, first 2 shown]
	s_mov_b32 s8, s0
	s_mov_b32 s9, s0
	s_mov_b64 s[6:7], -1
	s_mov_b64 s[4:5], -1
	s_waitcnt vmcnt(1)
	v_ashrrev_i32_e32 v7, 31, v2
	v_mov_b32_e32 v6, v2
	v_ashrrev_i32_e32 v11, 31, v5
	v_mov_b32_e32 v10, v5
	;; [unrolled: 2-line block ×4, first 2 shown]
	v_lshl_add_u64 v[4:5], v[6:7], 2, v[76:77]
	v_lshl_add_u64 v[10:11], v[10:11], 2, v[76:77]
	;; [unrolled: 1-line block ×4, first 2 shown]
	global_load_dword v2, v[4:5], off offset:4
	global_load_dword v12, v[6:7], off offset:4
	s_nop 0
	global_load_dword v4, v[8:9], off offset:4
	s_nop 0
	global_load_dword v10, v[10:11], off offset:4
	s_waitcnt vmcnt(4)
	v_cmp_lt_i32_e32 vcc, 0, v16
	s_waitcnt vmcnt(3)
	v_ashrrev_i32_e32 v3, 31, v2
	s_waitcnt vmcnt(2)
	v_ashrrev_i32_e32 v13, 31, v12
	;; [unrolled: 2-line block ×4, first 2 shown]
	v_lshl_add_u64 v[6:7], v[2:3], 2, s[10:11]
	v_lshl_add_u64 v[8:9], v[12:13], 2, s[10:11]
	;; [unrolled: 1-line block ×4, first 2 shown]
	global_load_dword v6, v[6:7], off
	s_nop 0
	global_load_dword v7, v[8:9], off
	s_nop 0
	global_load_dword v8, v[14:15], off
	global_load_dword v9, v[18:19], off
	s_mov_b32 s10, s0
	s_mov_b32 s11, s0
	v_writelane_b32 v78, s0, 44
	v_mov_b64_e32 v[20:21], s[10:11]
	v_mov_b64_e32 v[18:19], s[8:9]
	v_writelane_b32 v78, s1, 45
	v_writelane_b32 v78, s2, 46
	v_mov_b64_e32 v[14:15], s[8:9]
	v_mov_b32_e32 v3, v12
	v_mov_b32_e32 v5, v10
	scratch_store_dwordx4 off, v[18:21], off offset:288
	scratch_store_dwordx4 off, v[18:21], off
	scratch_store_dwordx4 off, v[18:21], off offset:304
	scratch_store_dwordx4 off, v[18:21], off offset:16
	;; [unrolled: 1-line block ×24, first 2 shown]
	v_writelane_b32 v78, s3, 47
	scratch_store_dwordx2 off, v[14:15], off offset:496
	scratch_store_dwordx2 off, v[14:15], off offset:208
	scratch_store_dwordx4 off, v[2:5], off
	s_waitcnt vmcnt(29)
	scratch_store_dwordx4 off, v[6:9], off offset:288
	s_and_saveexec_b64 s[8:9], vcc
	s_cbranch_execz .LBB6_46
; %bb.8:                                ;   in Loop: Header=BB6_3 Depth=1
	v_readlane_b32 s0, v78, 38
	v_readlane_b32 s1, v78, 39
	;; [unrolled: 1-line block ×4, first 2 shown]
	s_nop 4
	global_load_dword v2, v0, s[2:3]
	scratch_load_dword v17, off, off offset:216
	s_getpc_b64 s[0:1]
	s_add_u32 s0, s0, P@rel32@lo+4
	s_addc_u32 s1, s1, P@rel32@hi+12
	global_load_dwordx2 v[0:1], v62, s[0:1]
	v_readlane_b32 s0, v78, 28
	v_readlane_b32 s1, v78, 29
	s_movk_i32 s2, 0xf0
	v_mov_b32_e32 v3, v62
	v_mov_b64_e32 v[4:5], s[0:1]
	v_readlane_b32 s0, v78, 30
	v_readlane_b32 s1, v78, 31
	s_mov_b32 s84, 0
	s_mov_b64 s[10:11], 0
	v_mov_b64_e32 v[6:7], s[0:1]
	v_readlane_b32 s0, v78, 32
	v_readlane_b32 s1, v78, 33
                                        ; implicit-def: $sgpr12_sgpr13
                                        ; implicit-def: $sgpr14_sgpr15
                                        ; implicit-def: $sgpr16_sgpr17
	s_waitcnt vmcnt(2)
	v_and_b32_e32 v2, 15, v2
	v_mov_b64_e32 v[8:9], s[0:1]
	v_readlane_b32 s0, v78, 34
	v_readlane_b32 s1, v78, 35
	s_nop 1
	v_mov_b64_e32 v[10:11], s[0:1]
	v_mad_i64_i32 v[4:5], s[0:1], v72, s2, v[4:5]
	v_mad_i64_i32 v[6:7], s[0:1], v72, s2, v[6:7]
	;; [unrolled: 1-line block ×4, first 2 shown]
	s_waitcnt vmcnt(1)
	v_cmp_lt_i32_e64 s[0:1], 0, v17
	s_branch .LBB6_12
.LBB6_9:                                ;   in Loop: Header=BB6_12 Depth=2
	s_or_b64 exec, exec, s[22:23]
	s_add_i32 s84, s84, 1
	v_cmp_eq_u32_e32 vcc, s84, v16
	s_xor_b64 s[4:5], exec, -1
	s_orn2_b64 s[2:3], vcc, exec
.LBB6_10:                               ;   in Loop: Header=BB6_12 Depth=2
	s_or_b64 exec, exec, s[20:21]
	s_andn2_b64 s[16:17], s[16:17], exec
	s_and_b64 s[4:5], s[4:5], exec
	s_or_b64 s[16:17], s[16:17], s[4:5]
	s_andn2_b64 s[4:5], s[14:15], exec
	s_and_b64 s[2:3], s[2:3], exec
	s_or_b64 s[14:15], s[4:5], s[2:3]
.LBB6_11:                               ;   in Loop: Header=BB6_12 Depth=2
	s_or_b64 exec, exec, s[18:19]
	s_xor_b64 s[2:3], s[16:17], -1
	s_and_b64 s[4:5], exec, s[14:15]
	s_or_b64 s[10:11], s[4:5], s[10:11]
	s_andn2_b64 s[4:5], s[12:13], exec
	s_and_b64 s[2:3], s[2:3], exec
	s_or_b64 s[12:13], s[4:5], s[2:3]
	s_andn2_b64 exec, exec, s[10:11]
	s_cbranch_execz .LBB6_45
.LBB6_12:                               ;   Parent Loop BB6_3 Depth=1
                                        ; =>  This Loop Header: Depth=2
                                        ;       Child Loop BB6_25 Depth 3
                                        ;       Child Loop BB6_38 Depth 3
	v_lshl_add_u64 v[12:13], s[84:85], 2, v[4:5]
	global_load_dword v12, v[12:13], off
	s_or_b64 s[16:17], s[16:17], exec
	s_or_b64 s[14:15], s[14:15], exec
	s_waitcnt vmcnt(0)
	v_lshl_add_u32 v13, v12, 2, v59
	scratch_load_dword v14, v13, off
	s_waitcnt vmcnt(0)
	v_cmp_ne_u32_e32 vcc, -1, v14
	s_and_saveexec_b64 s[18:19], vcc
	s_cbranch_execz .LBB6_11
; %bb.13:                               ;   in Loop: Header=BB6_12 Depth=2
	v_lshl_add_u64 v[18:19], s[84:85], 2, v[6:7]
	global_load_dword v13, v[18:19], off
	s_mov_b64 s[2:3], -1
	s_mov_b64 s[4:5], -1
	s_waitcnt vmcnt(0)
	v_lshl_add_u32 v15, v13, 2, v59
	scratch_load_dword v15, v15, off
	s_waitcnt vmcnt(0)
	v_cmp_ne_u32_e32 vcc, -1, v15
	s_and_saveexec_b64 s[20:21], vcc
	s_cbranch_execz .LBB6_10
; %bb.14:                               ;   in Loop: Header=BB6_12 Depth=2
	v_lshl_add_u32 v18, v12, 2, v60
	scratch_load_dword v18, v18, off
	v_max_i32_e32 v14, v14, v15
	s_lshl_b32 s40, s84, 2
	v_add_u32_e32 v14, 1, v14
	s_add_i32 s33, s40, 0x120
	scratch_store_dword off, v14, s33 offset:16
	s_waitcnt vmcnt(1)
	v_cmp_ne_u32_e32 vcc, -1, v18
	s_and_saveexec_b64 s[22:23], vcc
	s_cbranch_execz .LBB6_9
; %bb.15:                               ;   in Loop: Header=BB6_12 Depth=2
	v_lshl_add_u32 v14, v13, 2, v60
	scratch_load_dword v14, v14, off
	v_cmp_ne_u32_e32 vcc, v18, v40
	s_waitcnt vmcnt(0)
	v_cmp_ne_u32_e64 s[2:3], -1, v14
	s_and_b64 s[2:3], vcc, s[2:3]
	v_cmp_ne_u32_e32 vcc, v14, v40
	s_and_b64 s[2:3], vcc, s[2:3]
	s_and_b64 exec, exec, s[2:3]
	s_cbranch_execz .LBB6_9
; %bb.16:                               ;   in Loop: Header=BB6_12 Depth=2
	s_lshl_b64 s[2:3], s[84:85], 2
	v_lshl_add_u64 v[20:21], v[8:9], 0, s[2:3]
	v_lshl_add_u64 v[22:23], v[10:11], 0, s[2:3]
	global_load_dword v15, v[20:21], off
	s_nop 0
	global_load_dword v22, v[22:23], off
	v_lshrrev_b64 v[20:21], v12, v[2:3]
	v_lshrrev_b64 v[12:13], v13, v[2:3]
	v_cmp_gt_i32_e32 vcc, v18, v14
	v_mov_b32_e32 v21, v14
	s_waitcnt vmcnt(1)
	v_bitop3_b32 v19, v15, v20, 1 bitop3:0x78
	s_waitcnt vmcnt(0)
	v_bitop3_b32 v12, v22, v12, 1 bitop3:0x78
	v_mov_b32_e32 v20, v12
	s_and_saveexec_b64 s[2:3], vcc
; %bb.17:                               ;   in Loop: Header=BB6_12 Depth=2
	v_mov_b32_e32 v20, v19
	v_mov_b32_e32 v19, v12
	;; [unrolled: 1-line block ×4, first 2 shown]
; %bb.18:                               ;   in Loop: Header=BB6_12 Depth=2
	s_or_b64 exec, exec, s[2:3]
	global_load_dword v14, v[0:1], off
	s_movk_i32 s2, 0x1f01
	v_mul_lo_u32 v12, v18, s2
	s_movk_i32 s2, 0xb9b
	v_mul_lo_u32 v13, v21, s2
	;; [unrolled: 2-line block ×4, first 2 shown]
	v_xor_b32_e32 v15, v15, v22
	v_xor_b32_e32 v13, v15, v13
	;; [unrolled: 1-line block ×3, first 2 shown]
	v_ashrrev_i32_e32 v13, 31, v12
	s_waitcnt vmcnt(0)
	v_readfirstlane_b32 s26, v14
	s_ashr_i32 s27, s26, 31
	v_or_b32_e32 v63, s27, v13
	v_cmp_ne_u64_e32 vcc, 0, v[62:63]
                                        ; implicit-def: $vgpr14_vgpr15
	s_and_saveexec_b64 s[2:3], vcc
	s_xor_b64 s[24:25], exec, s[2:3]
	s_cbranch_execz .LBB6_20
; %bb.19:                               ;   in Loop: Header=BB6_12 Depth=2
	v_cvt_f32_u32_e32 v14, s26
	v_cvt_f32_u32_e32 v15, s27
	s_sub_u32 s4, 0, s26
	s_subb_u32 s5, 0, s27
	v_mov_b32_e32 v23, v62
	v_fmac_f32_e32 v14, 0x4f800000, v15
	v_rcp_f32_e32 v14, v14
	s_nop 0
	v_mul_f32_e32 v14, 0x5f7ffffc, v14
	v_mul_f32_e32 v15, 0x2f800000, v14
	v_trunc_f32_e32 v15, v15
	v_fmac_f32_e32 v14, 0xcf800000, v15
	v_cvt_u32_f32_e32 v15, v15
	v_cvt_u32_f32_e32 v14, v14
	v_readfirstlane_b32 s28, v15
	v_readfirstlane_b32 s2, v14
	s_mul_i32 s3, s4, s28
	s_mul_hi_u32 s30, s4, s2
	s_mul_i32 s29, s5, s2
	s_add_i32 s3, s30, s3
	s_mul_i32 s31, s4, s2
	s_add_i32 s3, s3, s29
	s_mul_i32 s30, s2, s3
	s_mul_hi_u32 s34, s2, s31
	s_mul_hi_u32 s29, s2, s3
	s_add_u32 s30, s34, s30
	s_addc_u32 s29, 0, s29
	s_mul_hi_u32 s35, s28, s31
	s_mul_i32 s31, s28, s31
	s_add_u32 s30, s30, s31
	s_mul_hi_u32 s34, s28, s3
	s_addc_u32 s29, s29, s35
	s_addc_u32 s30, s34, 0
	s_mul_i32 s3, s28, s3
	s_add_u32 s3, s29, s3
	s_addc_u32 s29, 0, s30
	s_add_u32 s30, s2, s3
	s_cselect_b64 s[2:3], -1, 0
	s_cmp_lg_u64 s[2:3], 0
	s_addc_u32 s28, s28, s29
	s_mul_i32 s2, s4, s28
	s_mul_hi_u32 s3, s4, s30
	s_add_i32 s2, s3, s2
	s_mul_i32 s5, s5, s30
	s_add_i32 s2, s2, s5
	s_mul_i32 s4, s4, s30
	s_mul_hi_u32 s5, s28, s4
	s_mul_i32 s29, s28, s4
	s_mul_i32 s34, s30, s2
	s_mul_hi_u32 s4, s30, s4
	s_mul_hi_u32 s31, s30, s2
	s_add_u32 s4, s4, s34
	s_addc_u32 s31, 0, s31
	s_add_u32 s4, s4, s29
	s_mul_hi_u32 s3, s28, s2
	s_addc_u32 s4, s31, s5
	s_addc_u32 s3, s3, 0
	s_mul_i32 s2, s28, s2
	s_add_u32 s2, s4, s2
	s_addc_u32 s4, 0, s3
	s_add_u32 s5, s30, s2
	s_cselect_b64 s[2:3], -1, 0
	s_cmp_lg_u64 s[2:3], 0
	s_addc_u32 s4, s28, s4
	v_mad_u64_u32 v[14:15], s[2:3], v12, s4, 0
	v_mul_hi_u32 v22, v12, s5
	v_lshl_add_u64 v[14:15], v[22:23], 0, v[14:15]
	v_mad_u64_u32 v[24:25], s[2:3], v13, s5, 0
	v_add_co_u32_e32 v14, vcc, v14, v24
	v_mad_u64_u32 v[22:23], s[2:3], v13, s4, 0
	s_nop 0
	v_addc_co_u32_e32 v14, vcc, v15, v25, vcc
	v_mov_b32_e32 v15, v62
	s_nop 0
	v_addc_co_u32_e32 v23, vcc, 0, v23, vcc
	v_lshl_add_u64 v[14:15], v[14:15], 0, v[22:23]
	v_mul_lo_u32 v22, s27, v14
	v_mul_lo_u32 v23, s26, v15
	v_mad_u64_u32 v[14:15], s[2:3], s26, v14, 0
	v_add3_u32 v15, v15, v23, v22
	v_sub_u32_e32 v22, v13, v15
	v_mov_b32_e32 v23, s27
	v_sub_co_u32_e32 v12, vcc, v12, v14
	s_nop 1
	v_subb_co_u32_e64 v14, s[2:3], v22, v23, vcc
	v_subrev_co_u32_e64 v22, s[2:3], s26, v12
	v_subb_co_u32_e32 v13, vcc, v13, v15, vcc
	s_nop 0
	v_subbrev_co_u32_e64 v24, s[4:5], 0, v14, s[2:3]
	v_cmp_le_u32_e64 s[4:5], s27, v24
	v_subb_co_u32_e64 v14, s[2:3], v14, v23, s[2:3]
	s_nop 0
	v_cndmask_b32_e64 v25, 0, -1, s[4:5]
	v_cmp_le_u32_e64 s[4:5], s26, v22
	v_subrev_co_u32_e64 v23, s[2:3], s26, v22
	s_nop 0
	v_cndmask_b32_e64 v26, 0, -1, s[4:5]
	v_cmp_eq_u32_e64 s[4:5], s27, v24
	v_subbrev_co_u32_e64 v14, s[2:3], 0, v14, s[2:3]
	s_nop 0
	v_cndmask_b32_e64 v25, v25, v26, s[4:5]
	v_cmp_le_u32_e32 vcc, s27, v13
	v_cmp_ne_u32_e64 s[2:3], 0, v25
	s_nop 0
	v_cndmask_b32_e64 v15, 0, -1, vcc
	v_cmp_le_u32_e32 vcc, s26, v12
	v_cndmask_b32_e64 v14, v24, v14, s[2:3]
	s_nop 0
	v_cndmask_b32_e64 v24, 0, -1, vcc
	v_cmp_eq_u32_e32 vcc, s27, v13
	s_nop 1
	v_cndmask_b32_e32 v15, v15, v24, vcc
	v_cmp_ne_u32_e32 vcc, 0, v15
	s_nop 1
	v_cndmask_b32_e32 v15, v13, v14, vcc
	v_cndmask_b32_e64 v13, v22, v23, s[2:3]
	v_cndmask_b32_e32 v14, v12, v13, vcc
                                        ; implicit-def: $vgpr12_vgpr13
.LBB6_20:                               ;   in Loop: Header=BB6_12 Depth=2
	s_andn2_saveexec_b64 s[2:3], s[24:25]
	s_cbranch_execz .LBB6_22
; %bb.21:                               ;   in Loop: Header=BB6_12 Depth=2
	v_cvt_f32_u32_e32 v13, s26
	s_sub_i32 s4, 0, s26
	v_mov_b32_e32 v15, v62
	v_rcp_iflag_f32_e32 v13, v13
	s_nop 0
	v_mul_f32_e32 v13, 0x4f7ffffe, v13
	v_cvt_u32_f32_e32 v13, v13
	v_mul_lo_u32 v14, s4, v13
	v_mul_hi_u32 v14, v13, v14
	v_add_u32_e32 v13, v13, v14
	v_mul_hi_u32 v13, v12, v13
	v_mul_lo_u32 v13, v13, s26
	v_sub_u32_e32 v12, v12, v13
	v_subrev_u32_e32 v13, s26, v12
	v_cmp_le_u32_e32 vcc, s26, v12
	s_nop 1
	v_cndmask_b32_e32 v12, v12, v13, vcc
	v_subrev_u32_e32 v13, s26, v12
	v_cmp_le_u32_e32 vcc, s26, v12
	s_nop 1
	v_cndmask_b32_e32 v14, v12, v13, vcc
.LBB6_22:                               ;   in Loop: Header=BB6_12 Depth=2
	s_or_b64 exec, exec, s[2:3]
	s_mov_b64 s[2:3], 0
                                        ; implicit-def: $sgpr4_sgpr5
                                        ; implicit-def: $vgpr22
	s_branch .LBB6_25
.LBB6_23:                               ;   in Loop: Header=BB6_25 Depth=3
	s_or_b64 exec, exec, s[30:31]
	s_xor_b64 s[26:27], s[28:29], -1
	s_andn2_b64 s[4:5], s[4:5], exec
	s_and_b64 s[26:27], s[26:27], exec
	s_or_b64 s[4:5], s[4:5], s[26:27]
.LBB6_24:                               ;   in Loop: Header=BB6_25 Depth=3
	s_or_b64 exec, exec, s[24:25]
	s_and_b64 s[24:25], exec, s[4:5]
	s_or_b64 s[2:3], s[24:25], s[2:3]
	v_mov_b32_e32 v22, v12
	s_andn2_b64 exec, exec, s[2:3]
	s_cbranch_execz .LBB6_34
.LBB6_25:                               ;   Parent Loop BB6_3 Depth=1
                                        ;     Parent Loop BB6_12 Depth=2
                                        ; =>    This Inner Loop Header: Depth=3
	v_lshl_add_u64 v[12:13], v[14:15], 3, s[66:67]
	global_load_dword v14, v[12:13], off offset:4
	v_mov_b32_e32 v12, -1
	s_or_b64 s[4:5], s[4:5], exec
	s_waitcnt vmcnt(0)
	v_cmp_ne_u32_e32 vcc, -1, v14
	s_and_saveexec_b64 s[24:25], vcc
	s_cbranch_execz .LBB6_24
; %bb.26:                               ;   in Loop: Header=BB6_25 Depth=3
	v_ashrrev_i32_e32 v15, 31, v14
	v_lshl_add_u64 v[12:13], v[14:15], 3, s[66:67]
	global_load_dword v12, v[12:13], off
	v_readlane_b32 s44, v78, 4
	v_readlane_b32 s46, v78, 6
	;; [unrolled: 1-line block ×16, first 2 shown]
	s_waitcnt vmcnt(0)
	v_ashrrev_i32_e32 v13, 31, v12
	v_lshl_add_u64 v[24:25], v[12:13], 2, s[46:47]
	global_load_dword v23, v[24:25], off
	s_waitcnt vmcnt(0)
	v_cmp_ne_u32_e64 s[26:27], v23, v18
	v_cmp_eq_u32_e32 vcc, v23, v18
	s_and_saveexec_b64 s[28:29], vcc
	s_cbranch_execz .LBB6_32
; %bb.27:                               ;   in Loop: Header=BB6_25 Depth=3
	v_readlane_b32 s44, v78, 4
	v_readlane_b32 s48, v78, 8
	v_readlane_b32 s49, v78, 9
	v_readlane_b32 s45, v78, 5
	v_readlane_b32 s46, v78, 6
	v_lshl_add_u64 v[24:25], v[12:13], 2, s[48:49]
	global_load_dword v23, v[24:25], off
	v_readlane_b32 s47, v78, 7
	v_readlane_b32 s50, v78, 10
	;; [unrolled: 1-line block ×11, first 2 shown]
	s_waitcnt vmcnt(0)
	v_cmp_ne_u32_e64 s[30:31], v23, v21
	v_cmp_eq_u32_e32 vcc, v23, v21
	s_and_saveexec_b64 s[34:35], vcc
	s_cbranch_execz .LBB6_31
; %bb.28:                               ;   in Loop: Header=BB6_25 Depth=3
	v_readlane_b32 s44, v78, 4
	v_readlane_b32 s50, v78, 10
	;; [unrolled: 1-line block ×5, first 2 shown]
	v_lshl_add_u64 v[24:25], v[12:13], 2, s[50:51]
	global_load_dword v23, v[24:25], off
	v_readlane_b32 s47, v78, 7
	v_readlane_b32 s48, v78, 8
	;; [unrolled: 1-line block ×11, first 2 shown]
	s_waitcnt vmcnt(0)
	v_cmp_ne_u32_e64 s[36:37], v23, v19
	v_cmp_eq_u32_e32 vcc, v23, v19
	s_and_saveexec_b64 s[38:39], vcc
	s_cbranch_execz .LBB6_30
; %bb.29:                               ;   in Loop: Header=BB6_25 Depth=3
	v_readlane_b32 s44, v78, 4
	v_readlane_b32 s52, v78, 12
	;; [unrolled: 1-line block ×3, first 2 shown]
	s_andn2_b64 s[36:37], s[36:37], exec
	v_readlane_b32 s45, v78, 5
	v_lshl_add_u64 v[24:25], v[12:13], 2, s[52:53]
	global_load_dword v13, v[24:25], off
	v_readlane_b32 s46, v78, 6
	v_readlane_b32 s47, v78, 7
	;; [unrolled: 1-line block ×12, first 2 shown]
	s_waitcnt vmcnt(0)
	v_cmp_ne_u32_e32 vcc, v13, v20
	s_and_b64 s[42:43], vcc, exec
	s_or_b64 s[36:37], s[36:37], s[42:43]
.LBB6_30:                               ;   in Loop: Header=BB6_25 Depth=3
	s_or_b64 exec, exec, s[38:39]
	s_andn2_b64 s[30:31], s[30:31], exec
	s_and_b64 s[36:37], s[36:37], exec
	s_or_b64 s[30:31], s[30:31], s[36:37]
.LBB6_31:                               ;   in Loop: Header=BB6_25 Depth=3
	s_or_b64 exec, exec, s[34:35]
	s_andn2_b64 s[26:27], s[26:27], exec
	s_and_b64 s[30:31], s[30:31], exec
	s_or_b64 s[26:27], s[26:27], s[30:31]
.LBB6_32:                               ;   in Loop: Header=BB6_25 Depth=3
	s_or_b64 exec, exec, s[28:29]
	s_mov_b64 s[28:29], 0
	s_and_saveexec_b64 s[30:31], s[26:27]
	s_cbranch_execz .LBB6_23
; %bb.33:                               ;   in Loop: Header=BB6_25 Depth=3
	s_mov_b64 s[28:29], exec
	v_mov_b32_e32 v12, v22
	s_branch .LBB6_23
.LBB6_34:                               ;   in Loop: Header=BB6_12 Depth=2
	s_or_b64 exec, exec, s[2:3]
	v_cmp_ne_u32_e32 vcc, -1, v12
	s_and_b64 exec, exec, vcc
	s_cbranch_execz .LBB6_9
; %bb.35:                               ;   in Loop: Header=BB6_12 Depth=2
	s_mov_b64 s[4:5], -1
	s_and_saveexec_b64 s[2:3], s[0:1]
	s_cbranch_execz .LBB6_43
; %bb.36:                               ;   in Loop: Header=BB6_12 Depth=2
	s_movk_i32 s34, 0xe0
	s_mov_b32 s35, 0
	s_mov_b64 s[24:25], 0
                                        ; implicit-def: $sgpr4_sgpr5
                                        ; implicit-def: $sgpr28_sgpr29
                                        ; implicit-def: $sgpr26_sgpr27
	s_branch .LBB6_38
.LBB6_37:                               ;   in Loop: Header=BB6_38 Depth=3
	s_or_b64 exec, exec, s[30:31]
	s_and_b64 s[30:31], exec, s[28:29]
	s_or_b64 s[24:25], s[30:31], s[24:25]
	s_andn2_b64 s[4:5], s[4:5], exec
	s_and_b64 s[30:31], s[26:27], exec
	v_mov_b32_e32 v13, s35
	s_or_b64 s[4:5], s[4:5], s[30:31]
	s_mov_b32 s35, s36
	s_andn2_b64 exec, exec, s[24:25]
	s_cbranch_execz .LBB6_40
.LBB6_38:                               ;   Parent Loop BB6_3 Depth=1
                                        ;     Parent Loop BB6_12 Depth=2
                                        ; =>    This Inner Loop Header: Depth=3
	scratch_load_dword v13, off, s34
	s_or_b64 s[26:27], s[26:27], exec
	s_or_b64 s[28:29], s[28:29], exec
                                        ; implicit-def: $sgpr36
	s_waitcnt vmcnt(0)
	v_cmp_ne_u32_e32 vcc, v13, v12
	s_and_saveexec_b64 s[30:31], vcc
	s_cbranch_execz .LBB6_37
; %bb.39:                               ;   in Loop: Header=BB6_38 Depth=3
	s_add_i32 s36, s35, 1
	v_cmp_eq_u32_e32 vcc, s36, v17
	s_andn2_b64 s[28:29], s[28:29], exec
	s_and_b64 s[38:39], vcc, exec
	s_add_i32 s34, s34, 4
	s_andn2_b64 s[26:27], s[26:27], exec
	s_or_b64 s[28:29], s[28:29], s[38:39]
	s_branch .LBB6_37
.LBB6_40:                               ;   in Loop: Header=BB6_12 Depth=2
	s_or_b64 exec, exec, s[24:25]
	s_mov_b64 s[24:25], -1
	s_and_saveexec_b64 s[26:27], s[4:5]
	s_xor_b64 s[4:5], exec, s[26:27]
	s_cbranch_execz .LBB6_42
; %bb.41:                               ;   in Loop: Header=BB6_12 Depth=2
	v_lshlrev_b32_e32 v13, 2, v13
	scratch_load_dword v13, v13, off offset:256
	s_waitcnt vmcnt(0)
	v_cmp_ne_u32_e32 vcc, 0, v13
	s_orn2_b64 s[24:25], vcc, exec
.LBB6_42:                               ;   in Loop: Header=BB6_12 Depth=2
	s_or_b64 exec, exec, s[4:5]
	s_orn2_b64 s[4:5], s[24:25], exec
.LBB6_43:                               ;   in Loop: Header=BB6_12 Depth=2
	s_or_b64 exec, exec, s[2:3]
	s_and_b64 exec, exec, s[4:5]
	s_cbranch_execz .LBB6_9
; %bb.44:                               ;   in Loop: Header=BB6_12 Depth=2
	v_readlane_b32 s44, v78, 4
	v_ashrrev_i32_e32 v13, 31, v12
	v_readlane_b32 s54, v78, 14
	v_readlane_b32 s55, v78, 15
	;; [unrolled: 1-line block ×4, first 2 shown]
	v_lshl_add_u64 v[14:15], v[12:13], 2, s[54:55]
	global_load_dword v13, v[14:15], off
	v_readlane_b32 s47, v78, 7
	v_readlane_b32 s48, v78, 8
	;; [unrolled: 1-line block ×11, first 2 shown]
	scratch_store_dword off, v12, s40 offset:16
	s_waitcnt vmcnt(1)
	scratch_store_dword off, v13, s33 offset:16
	s_branch .LBB6_9
.LBB6_45:                               ;   in Loop: Header=BB6_3 Depth=1
	s_or_b64 exec, exec, s[10:11]
	s_orn2_b64 s[4:5], s[12:13], exec
.LBB6_46:                               ;   in Loop: Header=BB6_3 Depth=1
	s_or_b64 exec, exec, s[8:9]
	v_readlane_b32 s10, v78, 50
	v_readlane_b32 s11, v78, 51
	s_mov_b64 s[0:1], 0
	s_mov_b64 s[2:3], s[10:11]
	s_and_saveexec_b64 s[8:9], s[4:5]
	s_xor_b64 s[54:55], exec, s[8:9]
	s_cbranch_execz .LBB6_64
; %bb.47:                               ;   in Loop: Header=BB6_3 Depth=1
	v_readlane_b32 s0, v78, 36
	v_readlane_b32 s1, v78, 37
	s_nop 1
	v_lshl_add_u64 v[0:1], v[72:73], 2, s[0:1]
	global_load_dword v63, v[0:1], off
	s_mov_b64 s[0:1], -1
	s_waitcnt vmcnt(0)
	v_cmp_lt_i32_e32 vcc, 0, v63
	s_mov_b64 s[2:3], exec
	v_writelane_b32 v78, s2, 52
	s_nop 1
	v_writelane_b32 v78, s3, 53
	s_and_b64 s[2:3], s[2:3], vcc
	s_mov_b64 exec, s[2:3]
	s_cbranch_execz .LBB6_61
; %bb.48:                               ;   in Loop: Header=BB6_3 Depth=1
	v_readlane_b32 s0, v78, 42
	v_readlane_b32 s1, v78, 43
	s_mov_b32 s53, 0
	s_mov_b32 s83, -2
	v_mov_b64_e32 v[0:1], s[0:1]
	s_movk_i32 s0, 0x50
	v_mad_i64_i32 v[74:75], s[0:1], v72, s0, v[0:1]
	s_mov_b64 s[50:51], 0
                                        ; implicit-def: $sgpr64_sgpr65
	s_branch .LBB6_50
.LBB6_49:                               ;   in Loop: Header=BB6_50 Depth=2
	s_or_b64 exec, exec, s[4:5]
	s_xor_b64 s[0:1], s[2:3], -1
	s_and_b64 s[2:3], exec, s[38:39]
	s_or_b64 s[50:51], s[2:3], s[50:51]
	s_andn2_b64 s[2:3], s[64:65], exec
	s_and_b64 s[0:1], s[0:1], exec
	s_or_b64 s[64:65], s[2:3], s[0:1]
	s_andn2_b64 exec, exec, s[50:51]
	s_cbranch_execz .LBB6_60
.LBB6_50:                               ;   Parent Loop BB6_3 Depth=1
                                        ; =>  This Inner Loop Header: Depth=2
	global_load_dword v42, v[74:75], off
	s_mov_b64 s[38:39], -1
	s_mov_b64 s[0:1], -1
	s_waitcnt vmcnt(0)
	v_lshl_add_u32 v0, v42, 2, v60
	scratch_load_dword v0, v0, off
	s_waitcnt vmcnt(0)
	v_cmp_ne_u32_e32 vcc, v0, v40
	s_and_saveexec_b64 s[48:49], vcc
	s_cbranch_execz .LBB6_58
; %bb.51:                               ;   in Loop: Header=BB6_50 Depth=2
	v_readlane_b32 s2, v78, 0
	v_readlane_b32 s4, v78, 38
	;; [unrolled: 1-line block ×5, first 2 shown]
	s_getpc_b64 s[0:1]
	s_add_u32 s0, s0, _Z4EvaliPiiPN2rw7LibraryEi@rel32@lo+4
	s_addc_u32 s1, s1, _Z4EvaliPiiPN2rw7LibraryEi@rel32@hi+12
	v_mov_b32_e32 v0, v42
	v_mov_b32_e32 v1, 0
	;; [unrolled: 1-line block ×7, first 2 shown]
	v_readlane_b32 s5, v78, 39
	s_swappc_b64 s[30:31], s[0:1]
	v_lshl_add_u32 v1, v42, 2, v59
	scratch_load_dword v1, v1, off
	s_mov_b64 s[0:1], 0
	s_waitcnt vmcnt(0)
	v_cmp_ne_u32_e32 vcc, -1, v1
	s_and_saveexec_b64 s[2:3], vcc
	s_cbranch_execz .LBB6_57
; %bb.52:                               ;   in Loop: Header=BB6_50 Depth=2
	v_readlane_b32 s0, v78, 2
	v_readlane_b32 s1, v78, 3
	s_load_dword s0, s[0:1], 0x60
	v_sub_u32_e32 v0, v41, v0
	v_max_i32_e32 v2, 0, v56
	s_waitcnt lgkmcnt(0)
	v_or_b32_e32 v3, s0, v0
	v_cmp_ne_u32_e32 vcc, 0, v3
	v_cmp_le_i32_e64 s[0:1], v2, v0
	s_and_b64 s[0:1], s[0:1], vcc
	s_and_saveexec_b64 s[4:5], s[0:1]
	s_cbranch_execz .LBB6_56
; %bb.53:                               ;   in Loop: Header=BB6_50 Depth=2
	v_cmp_ne_u32_e32 vcc, v0, v56
	v_cmp_lt_i32_e64 s[0:1], v1, v57
	s_or_b64 s[6:7], vcc, s[0:1]
	s_and_saveexec_b64 s[0:1], s[6:7]
; %bb.54:                               ;   in Loop: Header=BB6_50 Depth=2
	v_mov_b32_e32 v47, s82
	v_mov_b32_e32 v44, s53
	;; [unrolled: 1-line block ×4, first 2 shown]
; %bb.55:                               ;   in Loop: Header=BB6_50 Depth=2
	s_or_b64 exec, exec, s[0:1]
.LBB6_56:                               ;   in Loop: Header=BB6_50 Depth=2
	s_or_b64 exec, exec, s[4:5]
	s_mov_b64 s[0:1], exec
.LBB6_57:                               ;   in Loop: Header=BB6_50 Depth=2
	s_or_b64 exec, exec, s[2:3]
	v_readlane_b32 s10, v78, 50
	s_orn2_b64 s[0:1], s[0:1], exec
	v_readlane_b32 s11, v78, 51
.LBB6_58:                               ;   in Loop: Header=BB6_50 Depth=2
	s_or_b64 exec, exec, s[48:49]
	s_mov_b64 s[2:3], -1
	s_and_saveexec_b64 s[4:5], s[0:1]
	s_cbranch_execz .LBB6_49
; %bb.59:                               ;   in Loop: Header=BB6_50 Depth=2
	s_add_i32 s53, s53, 1
	v_cmp_eq_u32_e32 vcc, s53, v63
	v_lshl_add_u64 v[74:75], v[74:75], 0, 4
	s_add_i32 s83, s83, -1
	s_xor_b64 s[2:3], exec, -1
	s_orn2_b64 s[38:39], vcc, exec
	s_branch .LBB6_49
.LBB6_60:                               ;   in Loop: Header=BB6_3 Depth=1
	s_or_b64 exec, exec, s[50:51]
	s_orn2_b64 s[0:1], s[64:65], exec
.LBB6_61:                               ;   in Loop: Header=BB6_3 Depth=1
	v_readlane_b32 s2, v78, 52
	v_readlane_b32 s3, v78, 53
	s_or_b64 exec, exec, s[2:3]
	s_mov_b64 s[2:3], s[10:11]
	s_and_saveexec_b64 s[4:5], s[0:1]
	s_cbranch_execz .LBB6_63
; %bb.62:                               ;   in Loop: Header=BB6_3 Depth=1
	global_load_dword v0, v[76:77], off offset:20
	v_lshlrev_b32_e32 v1, 27, v61
	s_mov_b32 s0, 0x87ffffff
	s_or_b64 s[2:3], s[10:11], exec
	s_waitcnt vmcnt(0)
	v_and_or_b32 v0, v0, s0, v1
	global_store_dword v[76:77], v0, off offset:20
.LBB6_63:                               ;   in Loop: Header=BB6_3 Depth=1
	s_or_b64 exec, exec, s[4:5]
	s_andn2_b64 s[4:5], s[10:11], exec
	s_and_b64 s[2:3], s[2:3], exec
	s_mov_b64 s[0:1], exec
	s_xor_b64 s[6:7], exec, -1
	s_or_b64 s[2:3], s[4:5], s[2:3]
.LBB6_64:                               ;   in Loop: Header=BB6_3 Depth=1
	s_or_b64 exec, exec, s[54:55]
	s_andn2_b64 s[4:5], s[10:11], exec
	s_and_b64 s[2:3], s[2:3], exec
	s_or_b64 s[4:5], s[4:5], s[2:3]
.LBB6_65:                               ;   in Loop: Header=BB6_3 Depth=1
	v_readlane_b32 s2, v78, 48
	v_readlane_b32 s3, v78, 49
	s_or_b64 exec, exec, s[2:3]
	s_orn2_b64 s[2:3], s[4:5], exec
.LBB6_66:                               ;   in Loop: Header=BB6_3 Depth=1
	s_or_b64 exec, exec, s[80:81]
	s_andn2_b64 s[8:9], s[70:71], exec
	s_and_b64 s[0:1], s[0:1], exec
	s_or_b64 s[70:71], s[8:9], s[0:1]
	s_andn2_b64 s[0:1], s[68:69], exec
	s_and_b64 s[6:7], s[6:7], exec
	s_mov_b64 s[4:5], -1
	s_or_b64 s[68:69], s[0:1], s[6:7]
	s_and_saveexec_b64 s[0:1], s[2:3]
	s_cbranch_execz .LBB6_2
; %bb.67:                               ;   in Loop: Header=BB6_3 Depth=1
	s_add_i32 s82, s82, 1
	s_cmp_eq_u32 s82, 8
	s_cselect_b64 s[2:3], -1, 0
	s_andn2_b64 s[70:71], s[70:71], exec
	s_andn2_b64 s[68:69], s[68:69], exec
	s_orn2_b64 s[4:5], s[2:3], exec
	s_branch .LBB6_2
.LBB6_68:
	s_or_b64 exec, exec, s[86:87]
	s_xor_b64 s[0:1], s[98:99], -1
	s_xor_b64 s[2:3], s[96:97], -1
	s_mov_b64 s[24:25], 0
	s_and_saveexec_b64 s[4:5], s[2:3]
	v_readlane_b32 s26, v78, 2
	s_xor_b64 s[22:23], exec, s[4:5]
	v_readlane_b32 s27, v78, 3
	s_cbranch_execnz .LBB6_73
; %bb.69:
	s_andn2_saveexec_b64 s[22:23], s[22:23]
	s_cbranch_execnz .LBB6_82
.LBB6_70:
	s_or_b64 exec, exec, s[22:23]
	s_and_b64 exec, exec, s[24:25]
.LBB6_71:
	; divergent unreachable
.LBB6_72:
	s_endpgm
.LBB6_73:
	s_and_saveexec_b64 s[2:3], s[0:1]
	s_xor_b64 s[0:1], exec, s[2:3]
	s_cbranch_execz .LBB6_79
; %bb.74:
	v_cmp_ne_u32_e32 vcc, -1, v47
	s_and_saveexec_b64 s[2:3], vcc
	s_xor_b64 s[2:3], exec, s[2:3]
	s_cbranch_execz .LBB6_76
; %bb.75:
	v_readlane_b32 s4, v78, 4
	v_readlane_b32 s18, v78, 18
	;; [unrolled: 1-line block ×5, first 2 shown]
	s_mov_b64 s[30:31], s[18:19]
	v_add_u32_e32 v0, v47, v43
	v_readlane_b32 s5, v78, 5
	s_mov_b64 s[28:29], s[16:17]
	s_mov_b64 s[16:17], s[4:5]
	v_mad_i64_i32 v[8:9], s[4:5], v0, 28, s[28:29]
	global_load_dwordx4 v[0:3], v[8:9], off offset:12
	global_load_dwordx4 v[4:7], v[8:9], off
	v_mov_b32_e32 v8, s16
	v_mov_b32_e32 v9, s17
	v_ashrrev_i32_e32 v47, 31, v46
	v_mad_i64_i32 v[10:11], s[4:5], v46, 28, s[30:31]
	v_readlane_b32 s6, v78, 6
	v_readlane_b32 s7, v78, 7
	;; [unrolled: 1-line block ×10, first 2 shown]
	v_mov_b32_e32 v12, 1
	v_lshl_add_u64 v[8:9], v[46:47], 2, v[8:9]
                                        ; implicit-def: $vgpr46
	s_waitcnt vmcnt(1)
	global_store_dwordx4 v[10:11], v[0:3], off offset:40
	s_waitcnt vmcnt(1)
	global_store_dwordx4 v[10:11], v[4:7], off offset:28
	global_store_byte v[10:11], v12, off offset:52
	global_store_dword v[8:9], v44, off offset:4
.LBB6_76:
	s_andn2_saveexec_b64 s[2:3], s[2:3]
	s_cbranch_execz .LBB6_78
; %bb.77:
	v_readlane_b32 s4, v78, 4
	v_readlane_b32 s5, v78, 5
	;; [unrolled: 1-line block ×4, first 2 shown]
	v_mov_b32_e32 v2, 0
	v_readlane_b32 s6, v78, 6
	v_mad_i64_i32 v[0:1], s[4:5], v46, 28, s[18:19]
	v_readlane_b32 s7, v78, 7
	v_readlane_b32 s8, v78, 8
	;; [unrolled: 1-line block ×11, first 2 shown]
	global_store_byte v[0:1], v2, off offset:52
.LBB6_78:
	s_or_b64 exec, exec, s[2:3]
.LBB6_79:
	s_or_saveexec_b64 s[24:25], s[0:1]
	s_mov_b64 s[0:1], 0
	s_xor_b64 exec, exec, s[24:25]
	s_cbranch_execz .LBB6_81
; %bb.80:
	s_add_u32 s8, s26, 0x68
	s_addc_u32 s9, s27, 0
	s_getpc_b64 s[0:1]
	s_add_u32 s0, s0, .str.2@rel32@lo+4
	s_addc_u32 s1, s1, .str.2@rel32@hi+12
	s_getpc_b64 s[2:3]
	s_add_u32 s2, s2, __PRETTY_FUNCTION__._Z12EvaluateNodeiPiS_S_S_S_S_PN2rw3CutES2_S_PNS0_7LibraryEPNS0_9TableNodeEi@rel32@lo+4
	s_addc_u32 s3, s3, __PRETTY_FUNCTION__._Z12EvaluateNodeiPiS_S_S_S_S_PN2rw3CutES2_S_PNS0_7LibraryEPNS0_9TableNodeEi@rel32@hi+12
	s_getpc_b64 s[4:5]
	s_add_u32 s4, s4, __assert_fail@rel32@lo+4
	s_addc_u32 s5, s5, __assert_fail@rel32@hi+12
	v_mov_b32_e32 v0, s0
	v_mov_b32_e32 v1, s1
	;; [unrolled: 1-line block ×5, first 2 shown]
	s_swappc_b64 s[30:31], s[4:5]
	s_mov_b64 s[0:1], exec
.LBB6_81:
	s_or_b64 exec, exec, s[24:25]
	s_and_b64 s[24:25], s[0:1], exec
	s_andn2_saveexec_b64 s[22:23], s[22:23]
	s_cbranch_execz .LBB6_70
.LBB6_82:
	s_add_u32 s8, s26, 0x68
	s_addc_u32 s9, s27, 0
	s_getpc_b64 s[0:1]
	s_add_u32 s0, s0, .str@rel32@lo+4
	s_addc_u32 s1, s1, .str@rel32@hi+12
	s_getpc_b64 s[2:3]
	s_add_u32 s2, s2, __PRETTY_FUNCTION__._Z12EvaluateNodeiPiS_S_S_S_S_PN2rw3CutES2_S_PNS0_7LibraryEPNS0_9TableNodeEi@rel32@lo+4
	s_addc_u32 s3, s3, __PRETTY_FUNCTION__._Z12EvaluateNodeiPiS_S_S_S_S_PN2rw3CutES2_S_PNS0_7LibraryEPNS0_9TableNodeEi@rel32@hi+12
	s_getpc_b64 s[4:5]
	s_add_u32 s4, s4, __assert_fail@rel32@lo+4
	s_addc_u32 s5, s5, __assert_fail@rel32@hi+12
	v_mov_b32_e32 v0, s0
	v_mov_b32_e32 v1, s1
	v_mov_b32_e32 v2, 0x197
	v_mov_b32_e32 v3, s2
	v_mov_b32_e32 v4, s3
	s_swappc_b64 s[30:31], s[4:5]
	s_or_b64 s[24:25], s[24:25], exec
	s_or_b64 exec, exec, s[22:23]
	s_and_b64 exec, exec, s[24:25]
	s_cbranch_execnz .LBB6_71
	s_branch .LBB6_72
	.section	.rodata,"a",@progbits
	.p2align	6, 0x0
	.amdhsa_kernel _Z12EvaluateNodeiPiS_S_S_S_S_PN2rw3CutES2_S_PNS0_7LibraryEPNS0_9TableNodeEi
		.amdhsa_group_segment_fixed_size 0
		.amdhsa_private_segment_fixed_size 608
		.amdhsa_kernarg_size 360
		.amdhsa_user_sgpr_count 2
		.amdhsa_user_sgpr_dispatch_ptr 0
		.amdhsa_user_sgpr_queue_ptr 0
		.amdhsa_user_sgpr_kernarg_segment_ptr 1
		.amdhsa_user_sgpr_dispatch_id 0
		.amdhsa_user_sgpr_kernarg_preload_length 0
		.amdhsa_user_sgpr_kernarg_preload_offset 0
		.amdhsa_user_sgpr_private_segment_size 0
		.amdhsa_uses_dynamic_stack 1
		.amdhsa_enable_private_segment 1
		.amdhsa_system_sgpr_workgroup_id_x 1
		.amdhsa_system_sgpr_workgroup_id_y 0
		.amdhsa_system_sgpr_workgroup_id_z 0
		.amdhsa_system_sgpr_workgroup_info 0
		.amdhsa_system_vgpr_workitem_id 0
		.amdhsa_next_free_vgpr 79
		.amdhsa_next_free_sgpr 100
		.amdhsa_accum_offset 80
		.amdhsa_reserve_vcc 1
		.amdhsa_float_round_mode_32 0
		.amdhsa_float_round_mode_16_64 0
		.amdhsa_float_denorm_mode_32 3
		.amdhsa_float_denorm_mode_16_64 3
		.amdhsa_dx10_clamp 1
		.amdhsa_ieee_mode 1
		.amdhsa_fp16_overflow 0
		.amdhsa_tg_split 0
		.amdhsa_exception_fp_ieee_invalid_op 0
		.amdhsa_exception_fp_denorm_src 0
		.amdhsa_exception_fp_ieee_div_zero 0
		.amdhsa_exception_fp_ieee_overflow 0
		.amdhsa_exception_fp_ieee_underflow 0
		.amdhsa_exception_fp_ieee_inexact 0
		.amdhsa_exception_int_div_zero 0
	.end_amdhsa_kernel
	.text
.Lfunc_end6:
	.size	_Z12EvaluateNodeiPiS_S_S_S_S_PN2rw3CutES2_S_PNS0_7LibraryEPNS0_9TableNodeEi, .Lfunc_end6-_Z12EvaluateNodeiPiS_S_S_S_S_PN2rw3CutES2_S_PNS0_7LibraryEPNS0_9TableNodeEi
                                        ; -- End function
	.set _Z12EvaluateNodeiPiS_S_S_S_S_PN2rw3CutES2_S_PNS0_7LibraryEPNS0_9TableNodeEi.num_vgpr, max(79, .L_Z8CalcMFFCiPN2rw3CutEPiS2_S2_S2_S2_S2_i.num_vgpr, .L_Z4EvaliPiiPN2rw7LibraryEi.num_vgpr, .L__assert_fail.num_vgpr)
	.set _Z12EvaluateNodeiPiS_S_S_S_S_PN2rw3CutES2_S_PNS0_7LibraryEPNS0_9TableNodeEi.num_agpr, max(0, .L_Z8CalcMFFCiPN2rw3CutEPiS2_S2_S2_S2_S2_i.num_agpr, .L_Z4EvaliPiiPN2rw7LibraryEi.num_agpr, .L__assert_fail.num_agpr)
	.set _Z12EvaluateNodeiPiS_S_S_S_S_PN2rw3CutES2_S_PNS0_7LibraryEPNS0_9TableNodeEi.numbered_sgpr, max(100, .L_Z8CalcMFFCiPN2rw3CutEPiS2_S2_S2_S2_S2_i.numbered_sgpr, .L_Z4EvaliPiiPN2rw7LibraryEi.numbered_sgpr, .L__assert_fail.numbered_sgpr)
	.set _Z12EvaluateNodeiPiS_S_S_S_S_PN2rw3CutES2_S_PNS0_7LibraryEPNS0_9TableNodeEi.num_named_barrier, max(0, .L_Z8CalcMFFCiPN2rw3CutEPiS2_S2_S2_S2_S2_i.num_named_barrier, .L_Z4EvaliPiiPN2rw7LibraryEi.num_named_barrier, .L__assert_fail.num_named_barrier)
	.set _Z12EvaluateNodeiPiS_S_S_S_S_PN2rw3CutES2_S_PNS0_7LibraryEPNS0_9TableNodeEi.private_seg_size, 512+max(.L_Z8CalcMFFCiPN2rw3CutEPiS2_S2_S2_S2_S2_i.private_seg_size, .L_Z4EvaliPiiPN2rw7LibraryEi.private_seg_size, .L__assert_fail.private_seg_size)
	.set _Z12EvaluateNodeiPiS_S_S_S_S_PN2rw3CutES2_S_PNS0_7LibraryEPNS0_9TableNodeEi.uses_vcc, or(1, .L_Z8CalcMFFCiPN2rw3CutEPiS2_S2_S2_S2_S2_i.uses_vcc, .L_Z4EvaliPiiPN2rw7LibraryEi.uses_vcc, .L__assert_fail.uses_vcc)
	.set _Z12EvaluateNodeiPiS_S_S_S_S_PN2rw3CutES2_S_PNS0_7LibraryEPNS0_9TableNodeEi.uses_flat_scratch, or(0, .L_Z8CalcMFFCiPN2rw3CutEPiS2_S2_S2_S2_S2_i.uses_flat_scratch, .L_Z4EvaliPiiPN2rw7LibraryEi.uses_flat_scratch, .L__assert_fail.uses_flat_scratch)
	.set _Z12EvaluateNodeiPiS_S_S_S_S_PN2rw3CutES2_S_PNS0_7LibraryEPNS0_9TableNodeEi.has_dyn_sized_stack, or(0, .L_Z8CalcMFFCiPN2rw3CutEPiS2_S2_S2_S2_S2_i.has_dyn_sized_stack, .L_Z4EvaliPiiPN2rw7LibraryEi.has_dyn_sized_stack, .L__assert_fail.has_dyn_sized_stack)
	.set _Z12EvaluateNodeiPiS_S_S_S_S_PN2rw3CutES2_S_PNS0_7LibraryEPNS0_9TableNodeEi.has_recursion, or(1, .L_Z8CalcMFFCiPN2rw3CutEPiS2_S2_S2_S2_S2_i.has_recursion, .L_Z4EvaliPiiPN2rw7LibraryEi.has_recursion, .L__assert_fail.has_recursion)
	.set _Z12EvaluateNodeiPiS_S_S_S_S_PN2rw3CutES2_S_PNS0_7LibraryEPNS0_9TableNodeEi.has_indirect_call, or(0, .L_Z8CalcMFFCiPN2rw3CutEPiS2_S2_S2_S2_S2_i.has_indirect_call, .L_Z4EvaliPiiPN2rw7LibraryEi.has_indirect_call, .L__assert_fail.has_indirect_call)
	.section	.AMDGPU.csdata,"",@progbits
; Kernel info:
; codeLenInByte = 6432
; TotalNumSgprs: 106
; NumVgprs: 79
; NumAgprs: 0
; TotalNumVgprs: 79
; ScratchSize: 608
; MemoryBound: 0
; FloatMode: 240
; IeeeMode: 1
; LDSByteSize: 0 bytes/workgroup (compile time only)
; SGPRBlocks: 13
; VGPRBlocks: 9
; NumSGPRsForWavesPerEU: 106
; NumVGPRsForWavesPerEU: 79
; AccumOffset: 80
; Occupancy: 6
; WaveLimiterHint : 1
; COMPUTE_PGM_RSRC2:SCRATCH_EN: 1
; COMPUTE_PGM_RSRC2:USER_SGPR: 2
; COMPUTE_PGM_RSRC2:TRAP_HANDLER: 0
; COMPUTE_PGM_RSRC2:TGID_X_EN: 1
; COMPUTE_PGM_RSRC2:TGID_Y_EN: 0
; COMPUTE_PGM_RSRC2:TGID_Z_EN: 0
; COMPUTE_PGM_RSRC2:TIDIG_COMP_CNT: 0
; COMPUTE_PGM_RSRC3_GFX90A:ACCUM_OFFSET: 19
; COMPUTE_PGM_RSRC3_GFX90A:TG_SPLIT: 0
	.text
	.protected	_Z14BuildHashTablePN2rw9TableNodeEiPiS2_S2_S2_ ; -- Begin function _Z14BuildHashTablePN2rw9TableNodeEiPiS2_S2_S2_
	.globl	_Z14BuildHashTablePN2rw9TableNodeEiPiS2_S2_S2_
	.p2align	8
	.type	_Z14BuildHashTablePN2rw9TableNodeEiPiS2_S2_S2_,@function
_Z14BuildHashTablePN2rw9TableNodeEiPiS2_S2_S2_: ; @_Z14BuildHashTablePN2rw9TableNodeEiPiS2_S2_S2_
; %bb.0:
	s_load_dword s3, s[0:1], 0x3c
	s_load_dword s4, s[0:1], 0x8
	s_waitcnt lgkmcnt(0)
	s_and_b32 s3, s3, 0xffff
	s_mul_i32 s2, s2, s3
	v_add_u32_e32 v0, s2, v0
	v_cmp_gt_i32_e32 vcc, s4, v0
	s_and_saveexec_b64 s[2:3], vcc
	s_cbranch_execz .LBB7_8
; %bb.1:
	s_load_dwordx8 s[4:11], s[0:1], 0x10
	v_ashrrev_i32_e32 v1, 31, v0
	v_lshlrev_b64 v[2:3], 2, v[0:1]
	s_waitcnt lgkmcnt(0)
	v_lshl_add_u64 v[6:7], s[4:5], 0, v[2:3]
	v_lshl_add_u64 v[8:9], s[6:7], 0, v[2:3]
	global_load_dword v1, v[6:7], off offset:4
	global_load_dword v4, v[8:9], off offset:4
	s_waitcnt vmcnt(0)
	v_or_b32_e32 v5, v1, v4
	v_cmp_ne_u32_e32 vcc, 0, v5
	s_and_b64 exec, exec, vcc
	s_cbranch_execz .LBB7_8
; %bb.2:
	v_lshl_add_u64 v[6:7], s[8:9], 0, v[2:3]
	global_load_dword v5, v[6:7], off offset:4
	v_lshl_add_u64 v[2:3], s[10:11], 0, v[2:3]
	global_load_dword v2, v[2:3], off offset:4
	s_getpc_b64 s[2:3]
	s_add_u32 s2, s2, P@rel32@lo+4
	s_addc_u32 s3, s3, P@rel32@hi+12
	s_load_dwordx2 s[2:3], s[2:3], 0x0
	s_movk_i32 s4, 0x1f01
	s_movk_i32 s5, 0xb9b
	;; [unrolled: 1-line block ×3, first 2 shown]
	v_mul_lo_u32 v1, v1, s4
	s_waitcnt lgkmcnt(0)
	s_load_dword s8, s[2:3], 0x0
	v_mul_lo_u32 v3, v4, s5
	s_movk_i32 s2, 0x161
	v_xor_b32_e32 v1, v3, v1
	v_mov_b32_e32 v4, 0
	s_waitcnt lgkmcnt(0)
	s_ashr_i32 s9, s8, 31
                                        ; implicit-def: $vgpr6_vgpr7
	s_waitcnt vmcnt(1)
	v_mul_lo_u32 v3, v5, s6
	v_xor_b32_e32 v1, v1, v3
	s_waitcnt vmcnt(0)
	v_mul_lo_u32 v2, v2, s2
	v_xor_b32_e32 v2, v1, v2
	v_ashrrev_i32_e32 v1, 31, v2
	v_or_b32_e32 v5, s9, v1
	v_cmp_ne_u64_e32 vcc, 0, v[4:5]
	s_and_saveexec_b64 s[2:3], vcc
	s_xor_b64 s[6:7], exec, s[2:3]
	s_cbranch_execz .LBB7_4
; %bb.3:
	v_cvt_f32_u32_e32 v3, s8
	v_cvt_f32_u32_e32 v5, s9
	s_sub_u32 s4, 0, s8
	s_subb_u32 s5, 0, s9
	v_mov_b32_e32 v9, v4
	v_fmamk_f32 v3, v5, 0x4f800000, v3
	v_rcp_f32_e32 v3, v3
	s_nop 0
	v_mul_f32_e32 v3, 0x5f7ffffc, v3
	v_mul_f32_e32 v5, 0x2f800000, v3
	v_trunc_f32_e32 v5, v5
	v_fmamk_f32 v3, v5, 0xcf800000, v3
	v_cvt_u32_f32_e32 v5, v5
	v_cvt_u32_f32_e32 v3, v3
	v_readfirstlane_b32 s10, v5
	v_readfirstlane_b32 s2, v3
	s_mul_i32 s3, s4, s10
	s_mul_hi_u32 s12, s4, s2
	s_mul_i32 s11, s5, s2
	s_add_i32 s3, s12, s3
	s_mul_i32 s13, s4, s2
	s_add_i32 s3, s3, s11
	s_mul_i32 s12, s2, s3
	s_mul_hi_u32 s14, s2, s13
	s_mul_hi_u32 s11, s2, s3
	s_add_u32 s12, s14, s12
	s_addc_u32 s11, 0, s11
	s_mul_hi_u32 s15, s10, s13
	s_mul_i32 s13, s10, s13
	s_add_u32 s12, s12, s13
	s_mul_hi_u32 s14, s10, s3
	s_addc_u32 s11, s11, s15
	s_addc_u32 s12, s14, 0
	s_mul_i32 s3, s10, s3
	s_add_u32 s3, s11, s3
	s_addc_u32 s11, 0, s12
	s_add_u32 s12, s2, s3
	s_cselect_b64 s[2:3], -1, 0
	s_cmp_lg_u64 s[2:3], 0
	s_addc_u32 s10, s10, s11
	s_mul_i32 s2, s4, s10
	s_mul_hi_u32 s3, s4, s12
	s_add_i32 s2, s3, s2
	s_mul_i32 s5, s5, s12
	s_add_i32 s2, s2, s5
	s_mul_i32 s4, s4, s12
	s_mul_hi_u32 s5, s10, s4
	s_mul_i32 s11, s10, s4
	s_mul_i32 s14, s12, s2
	s_mul_hi_u32 s4, s12, s4
	s_mul_hi_u32 s13, s12, s2
	s_add_u32 s4, s4, s14
	s_addc_u32 s13, 0, s13
	s_add_u32 s4, s4, s11
	s_mul_hi_u32 s3, s10, s2
	s_addc_u32 s4, s13, s5
	s_addc_u32 s3, s3, 0
	s_mul_i32 s2, s10, s2
	s_add_u32 s2, s4, s2
	s_addc_u32 s4, 0, s3
	s_add_u32 s5, s12, s2
	s_cselect_b64 s[2:3], -1, 0
	s_cmp_lg_u64 s[2:3], 0
	s_addc_u32 s4, s10, s4
	v_mad_u64_u32 v[6:7], s[2:3], v2, s4, 0
	v_mul_hi_u32 v8, v2, s5
	v_lshl_add_u64 v[6:7], v[8:9], 0, v[6:7]
	v_mad_u64_u32 v[10:11], s[2:3], v1, s5, 0
	v_add_co_u32_e32 v3, vcc, v6, v10
	v_mad_u64_u32 v[8:9], s[2:3], v1, s4, 0
	s_nop 0
	v_addc_co_u32_e32 v6, vcc, v7, v11, vcc
	v_mov_b32_e32 v7, v4
	s_nop 0
	v_addc_co_u32_e32 v9, vcc, 0, v9, vcc
	v_lshl_add_u64 v[4:5], v[6:7], 0, v[8:9]
	v_mul_lo_u32 v3, s9, v4
	v_mul_lo_u32 v6, s8, v5
	v_mad_u64_u32 v[4:5], s[2:3], s8, v4, 0
	v_add3_u32 v3, v5, v6, v3
	v_sub_u32_e32 v5, v1, v3
	v_mov_b32_e32 v6, s9
	v_sub_co_u32_e32 v2, vcc, v2, v4
	s_nop 1
	v_subb_co_u32_e64 v4, s[2:3], v5, v6, vcc
	v_subrev_co_u32_e64 v5, s[2:3], s8, v2
	v_subb_co_u32_e32 v1, vcc, v1, v3, vcc
	s_nop 0
	v_subbrev_co_u32_e64 v7, s[4:5], 0, v4, s[2:3]
	v_cmp_le_u32_e64 s[4:5], s9, v7
	v_subb_co_u32_e64 v4, s[2:3], v4, v6, s[2:3]
	s_nop 0
	v_cndmask_b32_e64 v8, 0, -1, s[4:5]
	v_cmp_le_u32_e64 s[4:5], s8, v5
	v_subrev_co_u32_e64 v6, s[2:3], s8, v5
	s_nop 0
	v_cndmask_b32_e64 v9, 0, -1, s[4:5]
	v_cmp_eq_u32_e64 s[4:5], s9, v7
	v_subbrev_co_u32_e64 v4, s[2:3], 0, v4, s[2:3]
	s_nop 0
	v_cndmask_b32_e64 v8, v8, v9, s[4:5]
	v_cmp_le_u32_e32 vcc, s9, v1
	v_cmp_ne_u32_e64 s[2:3], 0, v8
	s_nop 0
	v_cndmask_b32_e64 v3, 0, -1, vcc
	v_cmp_le_u32_e32 vcc, s8, v2
	v_cndmask_b32_e64 v4, v7, v4, s[2:3]
	s_nop 0
	v_cndmask_b32_e64 v7, 0, -1, vcc
	v_cmp_eq_u32_e32 vcc, s9, v1
	s_nop 1
	v_cndmask_b32_e32 v3, v3, v7, vcc
	v_cmp_ne_u32_e32 vcc, 0, v3
	s_nop 1
	v_cndmask_b32_e32 v7, v1, v4, vcc
	v_cndmask_b32_e64 v1, v5, v6, s[2:3]
	v_cndmask_b32_e32 v6, v2, v1, vcc
                                        ; implicit-def: $vgpr2_vgpr3
.LBB7_4:
	s_andn2_saveexec_b64 s[2:3], s[6:7]
	s_cbranch_execz .LBB7_6
; %bb.5:
	v_cvt_f32_u32_e32 v1, s8
	s_sub_i32 s4, 0, s8
	v_mov_b32_e32 v7, 0
	v_rcp_iflag_f32_e32 v1, v1
	s_nop 0
	v_mul_f32_e32 v1, 0x4f7ffffe, v1
	v_cvt_u32_f32_e32 v1, v1
	v_mul_lo_u32 v3, s4, v1
	v_mul_hi_u32 v3, v1, v3
	v_add_u32_e32 v1, v1, v3
	v_mul_hi_u32 v1, v2, v1
	v_mul_lo_u32 v1, v1, s8
	v_sub_u32_e32 v1, v2, v1
	v_subrev_u32_e32 v2, s8, v1
	v_cmp_le_u32_e32 vcc, s8, v1
	s_nop 1
	v_cndmask_b32_e32 v1, v1, v2, vcc
	v_subrev_u32_e32 v2, s8, v1
	v_cmp_le_u32_e32 vcc, s8, v1
	s_nop 1
	v_cndmask_b32_e32 v6, v1, v2, vcc
.LBB7_6:
	s_or_b64 exec, exec, s[2:3]
	s_load_dwordx2 s[0:1], s[0:1], 0x0
	v_add_u32_e32 v2, s8, v0
	v_ashrrev_i32_e32 v3, 31, v2
	v_add_u32_e32 v1, 1, v0
	s_mov_b64 s[2:3], 0
	s_waitcnt lgkmcnt(0)
	v_lshl_add_u64 v[2:3], v[2:3], 3, s[0:1]
	global_store_dword v[2:3], v1, off
	v_mov_b32_e32 v1, 0
	v_mov_b32_e32 v3, -1
	s_getpc_b64 s[4:5]
	s_add_u32 s4, s4, P@rel32@lo+4
	s_addc_u32 s5, s5, P@rel32@hi+12
.LBB7_7:                                ; =>This Inner Loop Header: Depth=1
	global_load_dwordx2 v[4:5], v1, s[4:5]
	s_waitcnt vmcnt(0)
	global_load_dword v2, v[4:5], off
	v_lshl_add_u64 v[4:5], v[6:7], 3, s[0:1]
	s_waitcnt vmcnt(0)
	v_add_u32_e32 v2, v2, v0
	global_atomic_cmpswap v6, v[4:5], v[2:3], off offset:4 sc0
	s_waitcnt vmcnt(0)
	v_cmp_eq_u32_e32 vcc, -1, v6
	s_or_b64 s[2:3], vcc, s[2:3]
	v_ashrrev_i32_e32 v7, 31, v6
	s_andn2_b64 exec, exec, s[2:3]
	s_cbranch_execnz .LBB7_7
.LBB7_8:
	s_endpgm
	.section	.rodata,"a",@progbits
	.p2align	6, 0x0
	.amdhsa_kernel _Z14BuildHashTablePN2rw9TableNodeEiPiS2_S2_S2_
		.amdhsa_group_segment_fixed_size 0
		.amdhsa_private_segment_fixed_size 0
		.amdhsa_kernarg_size 304
		.amdhsa_user_sgpr_count 2
		.amdhsa_user_sgpr_dispatch_ptr 0
		.amdhsa_user_sgpr_queue_ptr 0
		.amdhsa_user_sgpr_kernarg_segment_ptr 1
		.amdhsa_user_sgpr_dispatch_id 0
		.amdhsa_user_sgpr_kernarg_preload_length 0
		.amdhsa_user_sgpr_kernarg_preload_offset 0
		.amdhsa_user_sgpr_private_segment_size 0
		.amdhsa_uses_dynamic_stack 0
		.amdhsa_enable_private_segment 0
		.amdhsa_system_sgpr_workgroup_id_x 1
		.amdhsa_system_sgpr_workgroup_id_y 0
		.amdhsa_system_sgpr_workgroup_id_z 0
		.amdhsa_system_sgpr_workgroup_info 0
		.amdhsa_system_vgpr_workitem_id 0
		.amdhsa_next_free_vgpr 12
		.amdhsa_next_free_sgpr 16
		.amdhsa_accum_offset 12
		.amdhsa_reserve_vcc 1
		.amdhsa_float_round_mode_32 0
		.amdhsa_float_round_mode_16_64 0
		.amdhsa_float_denorm_mode_32 3
		.amdhsa_float_denorm_mode_16_64 3
		.amdhsa_dx10_clamp 1
		.amdhsa_ieee_mode 1
		.amdhsa_fp16_overflow 0
		.amdhsa_tg_split 0
		.amdhsa_exception_fp_ieee_invalid_op 0
		.amdhsa_exception_fp_denorm_src 0
		.amdhsa_exception_fp_ieee_div_zero 0
		.amdhsa_exception_fp_ieee_overflow 0
		.amdhsa_exception_fp_ieee_underflow 0
		.amdhsa_exception_fp_ieee_inexact 0
		.amdhsa_exception_int_div_zero 0
	.end_amdhsa_kernel
	.text
.Lfunc_end7:
	.size	_Z14BuildHashTablePN2rw9TableNodeEiPiS2_S2_S2_, .Lfunc_end7-_Z14BuildHashTablePN2rw9TableNodeEiPiS2_S2_S2_
                                        ; -- End function
	.set _Z14BuildHashTablePN2rw9TableNodeEiPiS2_S2_S2_.num_vgpr, 12
	.set _Z14BuildHashTablePN2rw9TableNodeEiPiS2_S2_S2_.num_agpr, 0
	.set _Z14BuildHashTablePN2rw9TableNodeEiPiS2_S2_S2_.numbered_sgpr, 16
	.set _Z14BuildHashTablePN2rw9TableNodeEiPiS2_S2_S2_.num_named_barrier, 0
	.set _Z14BuildHashTablePN2rw9TableNodeEiPiS2_S2_S2_.private_seg_size, 0
	.set _Z14BuildHashTablePN2rw9TableNodeEiPiS2_S2_S2_.uses_vcc, 1
	.set _Z14BuildHashTablePN2rw9TableNodeEiPiS2_S2_S2_.uses_flat_scratch, 0
	.set _Z14BuildHashTablePN2rw9TableNodeEiPiS2_S2_S2_.has_dyn_sized_stack, 0
	.set _Z14BuildHashTablePN2rw9TableNodeEiPiS2_S2_S2_.has_recursion, 0
	.set _Z14BuildHashTablePN2rw9TableNodeEiPiS2_S2_S2_.has_indirect_call, 0
	.section	.AMDGPU.csdata,"",@progbits
; Kernel info:
; codeLenInByte = 1152
; TotalNumSgprs: 22
; NumVgprs: 12
; NumAgprs: 0
; TotalNumVgprs: 12
; ScratchSize: 0
; MemoryBound: 0
; FloatMode: 240
; IeeeMode: 1
; LDSByteSize: 0 bytes/workgroup (compile time only)
; SGPRBlocks: 2
; VGPRBlocks: 1
; NumSGPRsForWavesPerEU: 22
; NumVGPRsForWavesPerEU: 12
; AccumOffset: 12
; Occupancy: 8
; WaveLimiterHint : 1
; COMPUTE_PGM_RSRC2:SCRATCH_EN: 0
; COMPUTE_PGM_RSRC2:USER_SGPR: 2
; COMPUTE_PGM_RSRC2:TRAP_HANDLER: 0
; COMPUTE_PGM_RSRC2:TGID_X_EN: 1
; COMPUTE_PGM_RSRC2:TGID_Y_EN: 0
; COMPUTE_PGM_RSRC2:TGID_Z_EN: 0
; COMPUTE_PGM_RSRC2:TIDIG_COMP_CNT: 0
; COMPUTE_PGM_RSRC3_GFX90A:ACCUM_OFFSET: 2
; COMPUTE_PGM_RSRC3_GFX90A:TG_SPLIT: 0
	.text
	.p2align	2                               ; -- Begin function _Z10BuildSubgriiPN2rw7LibraryEPimS2_S2_S2_S2_S2_PNS_9TableNodeEi
	.type	_Z10BuildSubgriiPN2rw7LibraryEPimS2_S2_S2_S2_S2_PNS_9TableNodeEi,@function
_Z10BuildSubgriiPN2rw7LibraryEPimS2_S2_S2_S2_S2_PNS_9TableNodeEi: ; @_Z10BuildSubgriiPN2rw7LibraryEPimS2_S2_S2_S2_S2_PNS_9TableNodeEi
; %bb.0:
	s_waitcnt vmcnt(0) expcnt(0) lgkmcnt(0)
	s_mov_b32 s0, s33
	s_mov_b32 s33, s32
	s_or_saveexec_b64 s[2:3], -1
	scratch_store_dword off, v79, s33 offset:108 ; 4-byte Folded Spill
	s_mov_b64 exec, s[2:3]
	v_writelane_b32 v79, s0, 6
	s_addk_i32 s32, 0x80
	scratch_store_dword off, v40, s33 offset:104 ; 4-byte Folded Spill
	scratch_store_dword off, v41, s33 offset:100 ; 4-byte Folded Spill
	scratch_store_dword off, v42, s33 offset:96 ; 4-byte Folded Spill
	scratch_store_dword off, v43, s33 offset:92 ; 4-byte Folded Spill
	scratch_store_dword off, v44, s33 offset:88 ; 4-byte Folded Spill
	scratch_store_dword off, v45, s33 offset:84 ; 4-byte Folded Spill
	scratch_store_dword off, v46, s33 offset:80 ; 4-byte Folded Spill
	scratch_store_dword off, v47, s33 offset:76 ; 4-byte Folded Spill
	scratch_store_dword off, v56, s33 offset:72 ; 4-byte Folded Spill
	scratch_store_dword off, v57, s33 offset:68 ; 4-byte Folded Spill
	scratch_store_dword off, v58, s33 offset:64 ; 4-byte Folded Spill
	scratch_store_dword off, v59, s33 offset:60 ; 4-byte Folded Spill
	scratch_store_dword off, v60, s33 offset:56 ; 4-byte Folded Spill
	scratch_store_dword off, v61, s33 offset:52 ; 4-byte Folded Spill
	scratch_store_dword off, v62, s33 offset:48 ; 4-byte Folded Spill
	scratch_store_dword off, v63, s33 offset:44 ; 4-byte Folded Spill
	scratch_store_dword off, v72, s33 offset:40 ; 4-byte Folded Spill
	scratch_store_dword off, v73, s33 offset:36 ; 4-byte Folded Spill
	scratch_store_dword off, v74, s33 offset:32 ; 4-byte Folded Spill
	scratch_store_dword off, v75, s33 offset:28 ; 4-byte Folded Spill
	scratch_store_dword off, v76, s33 offset:24 ; 4-byte Folded Spill
	scratch_store_dword off, v77, s33 offset:20 ; 4-byte Folded Spill
	scratch_store_dword off, v78, s33 offset:16 ; 4-byte Folded Spill
	scratch_store_dword off, v88, s33 offset:12 ; 4-byte Folded Spill
	scratch_store_dword off, v89, s33 offset:8 ; 4-byte Folded Spill
	scratch_store_dword off, v90, s33 offset:4 ; 4-byte Folded Spill
	scratch_store_dword off, v91, s33       ; 4-byte Folded Spill
	v_writelane_b32 v79, s34, 0
	v_writelane_b32 v79, s35, 1
	;; [unrolled: 1-line block ×5, first 2 shown]
	s_nop 1
	v_writelane_b32 v79, s31, 5
	v_mov_b32_e32 v63, v5
	v_mov_b32_e32 v62, v4
	;; [unrolled: 1-line block ×3, first 2 shown]
	v_ashrrev_i32_e32 v1, 31, v0
	v_lshl_add_u64 v[88:89], v[0:1], 2, v[62:63]
	flat_load_dword v1, v[88:89]
	v_mov_b32_e32 v78, v20
	v_mov_b32_e32 v41, v19
	;; [unrolled: 1-line block ×17, first 2 shown]
	s_waitcnt vmcnt(0) lgkmcnt(0)
	v_cmp_eq_u32_e32 vcc, -1, v1
	s_and_saveexec_b64 s[34:35], vcc
	s_cbranch_execz .LBB8_34
; %bb.1:
	v_add_u32_e32 v0, -4, v0
	s_movk_i32 s0, 0xf0
	v_ashrrev_i32_e32 v1, 31, v0
	v_mad_i64_i32 v[2:3], s[0:1], v73, s0, v[76:77]
	v_lshl_add_u64 v[90:91], v[0:1], 2, v[2:3]
	v_add_co_u32_e32 v0, vcc, 0xc4000, v90
	s_getpc_b64 s[36:37]
	s_add_u32 s36, s36, _Z10BuildSubgriiPN2rw7LibraryEPimS2_S2_S2_S2_S2_PNS_9TableNodeEi@rel32@lo+4
	s_addc_u32 s37, s37, _Z10BuildSubgriiPN2rw7LibraryEPimS2_S2_S2_S2_S2_PNS_9TableNodeEi@rel32@hi+12
	v_addc_co_u32_e32 v1, vcc, 0, v91, vcc
	flat_load_dword v74, v[0:1] offset:3536
	v_add_co_u32_e32 v0, vcc, 0xd1000, v90
	v_mov_b32_e32 v2, v76
	s_nop 0
	v_addc_co_u32_e32 v1, vcc, 0, v91, vcc
	flat_load_dword v72, v[0:1] offset:3568
	v_mov_b32_e32 v1, v73
	v_mov_b32_e32 v3, v77
	;; [unrolled: 1-line block ×19, first 2 shown]
	s_waitcnt vmcnt(0) lgkmcnt(0)
	v_mov_b32_e32 v0, v74
	s_swappc_b64 s[30:31], s[36:37]
	v_mov_b32_e32 v0, v72
	v_mov_b32_e32 v1, v73
	;; [unrolled: 1-line block ×21, first 2 shown]
	s_swappc_b64 s[30:31], s[36:37]
	s_mov_b64 s[0:1], exec
	v_mbcnt_lo_u32_b32 v0, s0, 0
	v_mbcnt_hi_u32_b32 v0, s1, v0
	v_cmp_eq_u32_e32 vcc, 0, v0
                                        ; implicit-def: $vgpr1
	s_and_saveexec_b64 s[2:3], vcc
	s_cbranch_execz .LBB8_3
; %bb.2:
	v_mov_b32_e32 v1, 0
	s_getpc_b64 s[4:5]
	s_add_u32 s4, s4, N@rel32@lo+4
	s_addc_u32 s5, s5, N@rel32@hi+12
	global_load_dwordx2 v[2:3], v1, s[4:5]
	s_bcnt1_i32_b64 s0, s[0:1]
	v_mov_b32_e32 v1, s0
	s_waitcnt vmcnt(0)
	global_atomic_add v1, v[2:3], v1, off sc0
.LBB8_3:
	s_or_b64 exec, exec, s[2:3]
	v_ashrrev_i32_e32 v75, 31, v74
	v_lshl_add_u64 v[2:3], v[74:75], 2, v[62:63]
	flat_load_dword v4, v[2:3]
	s_waitcnt vmcnt(0)
	v_readfirstlane_b32 s0, v1
	v_ashrrev_i32_e32 v73, 31, v72
	v_lshl_add_u64 v[2:3], v[72:73], 2, v[62:63]
	v_add_u32_e32 v8, s0, v0
	v_ashrrev_i32_e32 v9, 31, v8
	v_lshlrev_b64 v[10:11], 2, v[8:9]
	v_lshl_add_u64 v[0:1], v[56:57], 0, v[10:11]
	s_mov_b32 s0, 0xde000
	s_waitcnt lgkmcnt(0)
	flat_store_dword v[0:1], v4 offset:4
	flat_load_dword v6, v[2:3]
	v_add_co_u32_e32 v4, vcc, s0, v90
	v_lshl_add_u64 v[2:3], v[46:47], 0, v[10:11]
	s_nop 0
	v_addc_co_u32_e32 v5, vcc, 0, v91, vcc
	s_mov_b32 s0, 0xeb000
	v_add_co_u32_e32 v12, vcc, s0, v90
	s_waitcnt vmcnt(0) lgkmcnt(0)
	flat_store_dword v[2:3], v6 offset:4
	flat_load_dword v9, v[4:5] offset:3600
	v_lshrrev_b64 v[6:7], v74, v[60:61]
	v_lshl_add_u64 v[4:5], v[44:45], 0, v[10:11]
	v_addc_co_u32_e32 v13, vcc, 0, v91, vcc
	s_waitcnt vmcnt(0) lgkmcnt(0)
	v_bitop3_b32 v6, v9, v6, 1 bitop3:0x78
	flat_store_dword v[4:5], v6 offset:4
	flat_load_dword v9, v[12:13] offset:3632
	v_lshrrev_b64 v[12:13], v72, v[60:61]
	v_lshl_add_u64 v[6:7], v[42:43], 0, v[10:11]
	v_lshl_add_u64 v[10:11], v[58:59], 0, v[10:11]
	s_waitcnt vmcnt(0) lgkmcnt(0)
	v_bitop3_b32 v9, v9, v12, 1 bitop3:0x78
	flat_store_dword v[6:7], v9 offset:4
	flat_load_dword v12, v[0:1] offset:4
	flat_load_dword v14, v[2:3] offset:4
	;; [unrolled: 1-line block ×3, first 2 shown]
	s_waitcnt vmcnt(0) lgkmcnt(0)
	v_ashrrev_i32_e32 v13, 31, v12
	v_ashrrev_i32_e32 v15, 31, v14
	v_lshl_add_u64 v[12:13], v[12:13], 2, v[58:59]
	v_lshl_add_u64 v[14:15], v[14:15], 2, v[58:59]
	flat_load_dword v17, v[12:13]
	flat_load_dword v18, v[14:15]
	s_waitcnt vmcnt(0) lgkmcnt(0)
	v_xor_b32_e32 v12, v16, v17
	v_bitop3_b32 v9, v18, v12, v9 bitop3:0x48
	flat_store_dword v[10:11], v9 offset:4
	flat_load_dword v10, v[0:1] offset:4
	s_nop 0
	flat_load_dword v11, v[2:3] offset:4
                                        ; implicit-def: $vgpr9
	s_waitcnt vmcnt(0) lgkmcnt(0)
	v_cmp_le_i32_e32 vcc, v10, v11
	s_and_saveexec_b64 s[0:1], vcc
	s_xor_b64 s[0:1], exec, s[0:1]
	s_cbranch_execz .LBB8_5
; %bb.4:
	flat_load_dword v9, v[6:7] offset:4
.LBB8_5:
	s_andn2_saveexec_b64 s[0:1], s[0:1]
	s_cbranch_execz .LBB8_7
; %bb.6:
	flat_store_dword v[0:1], v11 offset:4
	flat_store_dword v[2:3], v10 offset:4
	flat_load_dword v10, v[6:7] offset:4
	s_waitcnt vmcnt(0) lgkmcnt(0)
	flat_load_dword v9, v[4:5] offset:4
	s_nop 0
	flat_store_dword v[4:5], v10 offset:4
	s_waitcnt vmcnt(0) lgkmcnt(0)
	flat_store_dword v[6:7], v9 offset:4
	flat_load_dword v10, v[0:1] offset:4
	flat_load_dword v11, v[2:3] offset:4
.LBB8_7:
	s_or_b64 exec, exec, s[0:1]
	v_mov_b32_e32 v12, 0
	s_getpc_b64 s[0:1]
	s_add_u32 s0, s0, P@rel32@lo+4
	s_addc_u32 s1, s1, P@rel32@hi+12
	global_load_dwordx2 v[14:15], v12, s[0:1]
	flat_load_dword v13, v[4:5] offset:4
	s_movk_i32 s0, 0x1f01
	s_waitcnt vmcnt(0) lgkmcnt(0)
	v_mul_lo_u32 v10, v10, s0
	s_movk_i32 s0, 0xb9b
	v_mul_lo_u32 v11, v11, s0
	s_movk_i32 s0, 0x38f
	v_xor_b32_e32 v10, v11, v10
	global_load_dword v14, v[14:15], off
	v_mul_lo_u32 v11, v13, s0
	s_movk_i32 s0, 0x161
	v_xor_b32_e32 v10, v10, v11
	v_mul_lo_u32 v9, v9, s0
	v_xor_b32_e32 v10, v10, v9
	v_ashrrev_i32_e32 v9, 31, v10
	s_waitcnt vmcnt(0)
	v_readfirstlane_b32 s6, v14
	s_ashr_i32 s7, s6, 31
	v_or_b32_e32 v13, s7, v9
	v_cmp_ne_u64_e32 vcc, 0, v[12:13]
                                        ; implicit-def: $vgpr14_vgpr15
	s_and_saveexec_b64 s[0:1], vcc
	s_xor_b64 s[4:5], exec, s[0:1]
	s_cbranch_execz .LBB8_9
; %bb.8:
	v_cvt_f32_u32_e32 v11, s6
	v_cvt_f32_u32_e32 v13, s7
	s_sub_u32 s2, 0, s6
	s_subb_u32 s3, 0, s7
	v_mov_b32_e32 v17, v12
	v_fmamk_f32 v11, v13, 0x4f800000, v11
	v_rcp_f32_e32 v11, v11
	s_nop 0
	v_mul_f32_e32 v11, 0x5f7ffffc, v11
	v_mul_f32_e32 v13, 0x2f800000, v11
	v_trunc_f32_e32 v13, v13
	v_fmamk_f32 v11, v13, 0xcf800000, v11
	v_cvt_u32_f32_e32 v13, v13
	v_cvt_u32_f32_e32 v11, v11
	v_readfirstlane_b32 s8, v13
	v_readfirstlane_b32 s0, v11
	s_mul_i32 s1, s2, s8
	s_mul_hi_u32 s10, s2, s0
	s_mul_i32 s9, s3, s0
	s_add_i32 s1, s10, s1
	s_mul_i32 s11, s2, s0
	s_add_i32 s1, s1, s9
	s_mul_i32 s10, s0, s1
	s_mul_hi_u32 s12, s0, s11
	s_mul_hi_u32 s9, s0, s1
	s_add_u32 s10, s12, s10
	s_addc_u32 s9, 0, s9
	s_mul_hi_u32 s13, s8, s11
	s_mul_i32 s11, s8, s11
	s_add_u32 s10, s10, s11
	s_mul_hi_u32 s12, s8, s1
	s_addc_u32 s9, s9, s13
	s_addc_u32 s10, s12, 0
	s_mul_i32 s1, s8, s1
	s_add_u32 s1, s9, s1
	s_addc_u32 s9, 0, s10
	s_add_u32 s10, s0, s1
	s_cselect_b64 s[0:1], -1, 0
	s_cmp_lg_u64 s[0:1], 0
	s_addc_u32 s8, s8, s9
	s_mul_i32 s0, s2, s8
	s_mul_hi_u32 s1, s2, s10
	s_add_i32 s0, s1, s0
	s_mul_i32 s3, s3, s10
	s_add_i32 s0, s0, s3
	s_mul_i32 s2, s2, s10
	s_mul_hi_u32 s3, s8, s2
	s_mul_i32 s9, s8, s2
	s_mul_i32 s12, s10, s0
	s_mul_hi_u32 s2, s10, s2
	s_mul_hi_u32 s11, s10, s0
	s_add_u32 s2, s2, s12
	s_addc_u32 s11, 0, s11
	s_add_u32 s2, s2, s9
	s_mul_hi_u32 s1, s8, s0
	s_addc_u32 s2, s11, s3
	s_addc_u32 s1, s1, 0
	s_mul_i32 s0, s8, s0
	s_add_u32 s0, s2, s0
	s_addc_u32 s2, 0, s1
	s_add_u32 s3, s10, s0
	s_cselect_b64 s[0:1], -1, 0
	s_cmp_lg_u64 s[0:1], 0
	s_addc_u32 s2, s8, s2
	v_mad_u64_u32 v[14:15], s[0:1], v10, s2, 0
	v_mul_hi_u32 v16, v10, s3
	v_lshl_add_u64 v[14:15], v[16:17], 0, v[14:15]
	v_mad_u64_u32 v[18:19], s[0:1], v9, s3, 0
	v_add_co_u32_e32 v11, vcc, v14, v18
	v_mad_u64_u32 v[16:17], s[0:1], v9, s2, 0
	s_nop 0
	v_addc_co_u32_e32 v14, vcc, v15, v19, vcc
	v_mov_b32_e32 v15, v12
	s_nop 0
	v_addc_co_u32_e32 v17, vcc, 0, v17, vcc
	v_lshl_add_u64 v[12:13], v[14:15], 0, v[16:17]
	v_mul_lo_u32 v11, s7, v12
	v_mul_lo_u32 v14, s6, v13
	v_mad_u64_u32 v[12:13], s[0:1], s6, v12, 0
	v_add3_u32 v11, v13, v14, v11
	v_sub_u32_e32 v13, v9, v11
	v_mov_b32_e32 v14, s7
	v_sub_co_u32_e32 v10, vcc, v10, v12
	s_nop 1
	v_subb_co_u32_e64 v12, s[0:1], v13, v14, vcc
	v_subrev_co_u32_e64 v13, s[0:1], s6, v10
	v_subb_co_u32_e32 v9, vcc, v9, v11, vcc
	s_nop 0
	v_subbrev_co_u32_e64 v15, s[2:3], 0, v12, s[0:1]
	v_cmp_le_u32_e64 s[2:3], s7, v15
	v_subb_co_u32_e64 v12, s[0:1], v12, v14, s[0:1]
	s_nop 0
	v_cndmask_b32_e64 v16, 0, -1, s[2:3]
	v_cmp_le_u32_e64 s[2:3], s6, v13
	v_subrev_co_u32_e64 v14, s[0:1], s6, v13
	s_nop 0
	v_cndmask_b32_e64 v17, 0, -1, s[2:3]
	v_cmp_eq_u32_e64 s[2:3], s7, v15
	v_subbrev_co_u32_e64 v12, s[0:1], 0, v12, s[0:1]
	s_nop 0
	v_cndmask_b32_e64 v16, v16, v17, s[2:3]
	v_cmp_le_u32_e32 vcc, s7, v9
	v_cmp_ne_u32_e64 s[0:1], 0, v16
	s_nop 0
	v_cndmask_b32_e64 v11, 0, -1, vcc
	v_cmp_le_u32_e32 vcc, s6, v10
	v_cndmask_b32_e64 v12, v15, v12, s[0:1]
	s_nop 0
	v_cndmask_b32_e64 v15, 0, -1, vcc
	v_cmp_eq_u32_e32 vcc, s7, v9
	s_nop 1
	v_cndmask_b32_e32 v11, v11, v15, vcc
	v_cmp_ne_u32_e32 vcc, 0, v11
	s_nop 1
	v_cndmask_b32_e32 v15, v9, v12, vcc
	v_cndmask_b32_e64 v9, v13, v14, s[0:1]
	v_cndmask_b32_e32 v14, v10, v9, vcc
                                        ; implicit-def: $vgpr10_vgpr11
.LBB8_9:
	s_andn2_saveexec_b64 s[0:1], s[4:5]
	s_cbranch_execz .LBB8_11
; %bb.10:
	v_cvt_f32_u32_e32 v9, s6
	s_sub_i32 s2, 0, s6
	v_mov_b32_e32 v15, 0
	v_rcp_iflag_f32_e32 v9, v9
	s_nop 0
	v_mul_f32_e32 v9, 0x4f7ffffe, v9
	v_cvt_u32_f32_e32 v9, v9
	v_mul_lo_u32 v11, s2, v9
	v_mul_hi_u32 v11, v9, v11
	v_add_u32_e32 v9, v9, v11
	v_mul_hi_u32 v9, v10, v9
	v_mul_lo_u32 v9, v9, s6
	v_sub_u32_e32 v9, v10, v9
	v_subrev_u32_e32 v10, s6, v9
	v_cmp_le_u32_e32 vcc, s6, v9
	s_nop 1
	v_cndmask_b32_e32 v9, v9, v10, vcc
	v_subrev_u32_e32 v10, s6, v9
	v_cmp_le_u32_e32 vcc, s6, v9
	s_nop 1
	v_cndmask_b32_e32 v14, v9, v10, vcc
.LBB8_11:
	s_or_b64 exec, exec, s[0:1]
	v_sub_u32_e32 v11, v8, v78
	v_add_u32_e32 v10, 1, v8
	v_add_u32_e32 v8, s6, v11
	v_ashrrev_i32_e32 v9, 31, v8
	v_lshl_add_u64 v[8:9], v[8:9], 3, v[40:41]
	flat_store_dword v[8:9], v10
	s_mov_b64 s[0:1], 0
	v_mov_b32_e32 v12, 0
	v_mov_b32_e32 v9, -1
	s_getpc_b64 s[2:3]
	s_add_u32 s2, s2, P@rel32@lo+4
	s_addc_u32 s3, s3, P@rel32@hi+12
.LBB8_12:                               ; =>This Inner Loop Header: Depth=1
	global_load_dwordx2 v[16:17], v12, s[2:3]
	v_lshl_add_u64 v[14:15], v[14:15], 3, v[40:41]
	s_waitcnt vmcnt(0)
	global_load_dword v8, v[16:17], off
	s_waitcnt vmcnt(0)
	v_add_u32_e32 v8, v8, v11
	flat_atomic_cmpswap v14, v[14:15], v[8:9] offset:4 sc0
	s_waitcnt vmcnt(0) lgkmcnt(0)
	v_cmp_eq_u32_e32 vcc, -1, v14
	s_or_b64 s[0:1], vcc, s[0:1]
	v_ashrrev_i32_e32 v15, 31, v14
	s_andn2_b64 exec, exec, s[0:1]
	s_cbranch_execnz .LBB8_12
; %bb.13:
	s_or_b64 exec, exec, s[0:1]
	flat_load_dword v11, v[0:1] offset:4
	flat_load_dword v8, v[2:3] offset:4
	;; [unrolled: 1-line block ×4, first 2 shown]
	s_waitcnt vmcnt(0) lgkmcnt(0)
	v_cmp_gt_i32_e32 vcc, v11, v8
	v_mov_b32_e32 v13, v9
	v_mov_b32_e32 v14, v8
	s_and_saveexec_b64 s[0:1], vcc
; %bb.14:
	v_mov_b32_e32 v13, v12
	v_mov_b32_e32 v12, v9
	;; [unrolled: 1-line block ×4, first 2 shown]
; %bb.15:
	s_or_b64 exec, exec, s[0:1]
	v_mov_b32_e32 v8, 0
	s_getpc_b64 s[0:1]
	s_add_u32 s0, s0, P@rel32@lo+4
	s_addc_u32 s1, s1, P@rel32@hi+12
	global_load_dwordx2 v[4:5], v8, s[0:1]
	s_movk_i32 s0, 0x1f01
	s_waitcnt vmcnt(0)
	global_load_dword v4, v[4:5], off
	v_mul_lo_u32 v5, v11, s0
	s_movk_i32 s0, 0xb9b
	v_mul_lo_u32 v6, v14, s0
	s_movk_i32 s0, 0x38f
	;; [unrolled: 2-line block ×3, first 2 shown]
	v_mul_lo_u32 v9, v13, s0
	v_xor_b32_e32 v7, v7, v9
	v_xor_b32_e32 v6, v7, v6
	v_xor_b32_e32 v6, v6, v5
	v_ashrrev_i32_e32 v7, 31, v6
	s_waitcnt vmcnt(0)
	v_readfirstlane_b32 s6, v4
	s_ashr_i32 s7, s6, 31
	v_or_b32_e32 v9, s7, v7
	v_cmp_ne_u64_e32 vcc, 0, v[8:9]
                                        ; implicit-def: $vgpr4_vgpr5
	s_and_saveexec_b64 s[0:1], vcc
	s_xor_b64 s[4:5], exec, s[0:1]
	s_cbranch_execz .LBB8_17
; %bb.16:
	v_cvt_f32_u32_e32 v4, s6
	v_cvt_f32_u32_e32 v5, s7
	s_sub_u32 s2, 0, s6
	s_subb_u32 s3, 0, s7
	v_mov_b32_e32 v17, v8
	v_fmamk_f32 v4, v5, 0x4f800000, v4
	v_rcp_f32_e32 v4, v4
	s_nop 0
	v_mul_f32_e32 v4, 0x5f7ffffc, v4
	v_mul_f32_e32 v5, 0x2f800000, v4
	v_trunc_f32_e32 v5, v5
	v_fmamk_f32 v4, v5, 0xcf800000, v4
	v_cvt_u32_f32_e32 v5, v5
	v_cvt_u32_f32_e32 v4, v4
	v_readfirstlane_b32 s8, v5
	v_readfirstlane_b32 s0, v4
	s_mul_i32 s1, s2, s8
	s_mul_hi_u32 s10, s2, s0
	s_mul_i32 s9, s3, s0
	s_add_i32 s1, s10, s1
	s_mul_i32 s11, s2, s0
	s_add_i32 s1, s1, s9
	s_mul_i32 s10, s0, s1
	s_mul_hi_u32 s12, s0, s11
	s_mul_hi_u32 s9, s0, s1
	s_add_u32 s10, s12, s10
	s_addc_u32 s9, 0, s9
	s_mul_hi_u32 s13, s8, s11
	s_mul_i32 s11, s8, s11
	s_add_u32 s10, s10, s11
	s_mul_hi_u32 s12, s8, s1
	s_addc_u32 s9, s9, s13
	s_addc_u32 s10, s12, 0
	s_mul_i32 s1, s8, s1
	s_add_u32 s1, s9, s1
	s_addc_u32 s9, 0, s10
	s_add_u32 s10, s0, s1
	s_cselect_b64 s[0:1], -1, 0
	s_cmp_lg_u64 s[0:1], 0
	s_addc_u32 s8, s8, s9
	s_mul_i32 s0, s2, s8
	s_mul_hi_u32 s1, s2, s10
	s_add_i32 s0, s1, s0
	s_mul_i32 s3, s3, s10
	s_add_i32 s0, s0, s3
	s_mul_i32 s2, s2, s10
	s_mul_hi_u32 s3, s8, s2
	s_mul_i32 s9, s8, s2
	s_mul_i32 s12, s10, s0
	s_mul_hi_u32 s2, s10, s2
	s_mul_hi_u32 s11, s10, s0
	s_add_u32 s2, s2, s12
	s_addc_u32 s11, 0, s11
	s_add_u32 s2, s2, s9
	s_mul_hi_u32 s1, s8, s0
	s_addc_u32 s2, s11, s3
	s_addc_u32 s1, s1, 0
	s_mul_i32 s0, s8, s0
	s_add_u32 s0, s2, s0
	s_addc_u32 s2, 0, s1
	s_add_u32 s3, s10, s0
	s_cselect_b64 s[0:1], -1, 0
	s_cmp_lg_u64 s[0:1], 0
	s_addc_u32 s2, s8, s2
	v_mad_u64_u32 v[4:5], s[0:1], v6, s2, 0
	v_mul_hi_u32 v16, v6, s3
	v_lshl_add_u64 v[4:5], v[16:17], 0, v[4:5]
	v_mad_u64_u32 v[18:19], s[0:1], v7, s3, 0
	v_add_co_u32_e32 v4, vcc, v4, v18
	v_mad_u64_u32 v[16:17], s[0:1], v7, s2, 0
	s_nop 0
	v_addc_co_u32_e32 v4, vcc, v5, v19, vcc
	v_mov_b32_e32 v5, v8
	s_nop 0
	v_addc_co_u32_e32 v17, vcc, 0, v17, vcc
	v_lshl_add_u64 v[4:5], v[4:5], 0, v[16:17]
	v_mul_lo_u32 v8, s7, v4
	v_mul_lo_u32 v9, s6, v5
	v_mad_u64_u32 v[4:5], s[0:1], s6, v4, 0
	v_add3_u32 v5, v5, v9, v8
	v_sub_u32_e32 v8, v7, v5
	v_mov_b32_e32 v9, s7
	v_sub_co_u32_e32 v4, vcc, v6, v4
	s_nop 1
	v_subb_co_u32_e64 v6, s[0:1], v8, v9, vcc
	v_subrev_co_u32_e64 v8, s[0:1], s6, v4
	v_subb_co_u32_e32 v5, vcc, v7, v5, vcc
	s_nop 0
	v_subbrev_co_u32_e64 v15, s[2:3], 0, v6, s[0:1]
	v_cmp_le_u32_e64 s[2:3], s7, v15
	v_subb_co_u32_e64 v6, s[0:1], v6, v9, s[0:1]
	s_nop 0
	v_cndmask_b32_e64 v16, 0, -1, s[2:3]
	v_cmp_le_u32_e64 s[2:3], s6, v8
	v_subrev_co_u32_e64 v9, s[0:1], s6, v8
	s_nop 0
	v_cndmask_b32_e64 v17, 0, -1, s[2:3]
	v_cmp_eq_u32_e64 s[2:3], s7, v15
	v_subbrev_co_u32_e64 v6, s[0:1], 0, v6, s[0:1]
	s_nop 0
	v_cndmask_b32_e64 v16, v16, v17, s[2:3]
	v_cmp_le_u32_e32 vcc, s7, v5
	v_cmp_ne_u32_e64 s[0:1], 0, v16
	s_nop 0
	v_cndmask_b32_e64 v7, 0, -1, vcc
	v_cmp_le_u32_e32 vcc, s6, v4
	v_cndmask_b32_e64 v6, v15, v6, s[0:1]
	s_nop 0
	v_cndmask_b32_e64 v15, 0, -1, vcc
	v_cmp_eq_u32_e32 vcc, s7, v5
	s_nop 1
	v_cndmask_b32_e32 v7, v7, v15, vcc
	v_cmp_ne_u32_e32 vcc, 0, v7
	s_nop 1
	v_cndmask_b32_e32 v5, v5, v6, vcc
	v_cndmask_b32_e64 v6, v8, v9, s[0:1]
	v_cndmask_b32_e32 v4, v4, v6, vcc
                                        ; implicit-def: $vgpr6_vgpr7
.LBB8_17:
	s_andn2_saveexec_b64 s[0:1], s[4:5]
	s_cbranch_execz .LBB8_19
; %bb.18:
	v_cvt_f32_u32_e32 v4, s6
	s_sub_i32 s2, 0, s6
	v_rcp_iflag_f32_e32 v4, v4
	s_nop 0
	v_mul_f32_e32 v4, 0x4f7ffffe, v4
	v_cvt_u32_f32_e32 v4, v4
	v_mul_lo_u32 v5, s2, v4
	v_mul_hi_u32 v5, v4, v5
	v_add_u32_e32 v4, v4, v5
	v_mul_hi_u32 v4, v6, v4
	v_mul_lo_u32 v4, v4, s6
	v_sub_u32_e32 v4, v6, v4
	v_subrev_u32_e32 v5, s6, v4
	v_cmp_le_u32_e32 vcc, s6, v4
	s_nop 1
	v_cndmask_b32_e32 v4, v4, v5, vcc
	v_subrev_u32_e32 v5, s6, v4
	v_cmp_le_u32_e32 vcc, s6, v4
	s_nop 1
	v_cndmask_b32_e32 v4, v4, v5, vcc
	v_mov_b32_e32 v5, 0
.LBB8_19:
	s_or_b64 exec, exec, s[0:1]
	s_mov_b64 s[0:1], 0
                                        ; implicit-def: $sgpr2_sgpr3
                                        ; implicit-def: $vgpr8
	s_branch .LBB8_22
.LBB8_20:                               ;   in Loop: Header=BB8_22 Depth=1
	s_or_b64 exec, exec, s[10:11]
	s_xor_b64 s[6:7], s[8:9], -1
	s_andn2_b64 s[2:3], s[2:3], exec
	s_and_b64 s[6:7], s[6:7], exec
	s_or_b64 s[2:3], s[2:3], s[6:7]
.LBB8_21:                               ;   in Loop: Header=BB8_22 Depth=1
	s_or_b64 exec, exec, s[4:5]
	s_and_b64 s[4:5], exec, s[2:3]
	s_or_b64 s[0:1], s[4:5], s[0:1]
	v_mov_b32_e32 v8, v6
	s_andn2_b64 exec, exec, s[0:1]
	s_cbranch_execz .LBB8_31
.LBB8_22:                               ; =>This Inner Loop Header: Depth=1
	v_lshl_add_u64 v[4:5], v[4:5], 3, v[40:41]
	flat_load_dword v4, v[4:5] offset:4
	v_mov_b32_e32 v6, -1
	s_or_b64 s[2:3], s[2:3], exec
	s_waitcnt vmcnt(0) lgkmcnt(0)
	v_cmp_ne_u32_e32 vcc, -1, v4
	s_and_saveexec_b64 s[4:5], vcc
	s_cbranch_execz .LBB8_21
; %bb.23:                               ;   in Loop: Header=BB8_22 Depth=1
	v_ashrrev_i32_e32 v5, 31, v4
	v_lshl_add_u64 v[6:7], v[4:5], 3, v[40:41]
	flat_load_dword v6, v[6:7]
	s_waitcnt vmcnt(0) lgkmcnt(0)
	v_ashrrev_i32_e32 v7, 31, v6
	v_lshl_add_u64 v[16:17], v[6:7], 2, v[56:57]
	flat_load_dword v9, v[16:17]
	s_waitcnt vmcnt(0) lgkmcnt(0)
	v_cmp_ne_u32_e64 s[6:7], v9, v11
	v_cmp_eq_u32_e32 vcc, v9, v11
	s_and_saveexec_b64 s[8:9], vcc
	s_cbranch_execz .LBB8_29
; %bb.24:                               ;   in Loop: Header=BB8_22 Depth=1
	v_lshl_add_u64 v[16:17], v[6:7], 2, v[46:47]
	flat_load_dword v9, v[16:17]
	s_waitcnt vmcnt(0) lgkmcnt(0)
	v_cmp_ne_u32_e64 s[10:11], v9, v14
	v_cmp_eq_u32_e32 vcc, v9, v14
	s_and_saveexec_b64 s[12:13], vcc
	s_cbranch_execz .LBB8_28
; %bb.25:                               ;   in Loop: Header=BB8_22 Depth=1
	;; [unrolled: 8-line block ×3, first 2 shown]
	v_lshl_add_u64 v[16:17], v[6:7], 2, v[42:43]
	flat_load_dword v7, v[16:17]
	s_andn2_b64 s[14:15], s[14:15], exec
	s_waitcnt vmcnt(0) lgkmcnt(0)
	v_cmp_ne_u32_e32 vcc, v7, v13
	s_and_b64 s[18:19], vcc, exec
	s_or_b64 s[14:15], s[14:15], s[18:19]
.LBB8_27:                               ;   in Loop: Header=BB8_22 Depth=1
	s_or_b64 exec, exec, s[16:17]
	s_andn2_b64 s[10:11], s[10:11], exec
	s_and_b64 s[14:15], s[14:15], exec
	s_or_b64 s[10:11], s[10:11], s[14:15]
.LBB8_28:                               ;   in Loop: Header=BB8_22 Depth=1
	s_or_b64 exec, exec, s[12:13]
	s_andn2_b64 s[6:7], s[6:7], exec
	s_and_b64 s[10:11], s[10:11], exec
	s_or_b64 s[6:7], s[6:7], s[10:11]
.LBB8_29:                               ;   in Loop: Header=BB8_22 Depth=1
	s_or_b64 exec, exec, s[8:9]
	s_mov_b64 s[8:9], 0
	s_and_saveexec_b64 s[10:11], s[6:7]
	s_cbranch_execz .LBB8_20
; %bb.30:                               ;   in Loop: Header=BB8_22 Depth=1
	s_mov_b64 s[8:9], exec
	v_mov_b32_e32 v6, v8
	s_branch .LBB8_20
.LBB8_31:
	s_or_b64 exec, exec, s[0:1]
	v_cmp_ne_u32_e32 vcc, v6, v10
	s_and_saveexec_b64 s[0:1], vcc
	s_cbranch_execz .LBB8_33
; %bb.32:
	v_mov_b32_e32 v4, -1
	v_mov_b32_e32 v10, v6
	flat_store_dword v[2:3], v4 offset:4
	flat_store_dword v[0:1], v4 offset:4
.LBB8_33:
	s_or_b64 exec, exec, s[0:1]
	flat_store_dword v[88:89], v10
.LBB8_34:
	s_or_b64 exec, exec, s[34:35]
	scratch_load_dword v91, off, s33        ; 4-byte Folded Reload
	scratch_load_dword v90, off, s33 offset:4 ; 4-byte Folded Reload
	scratch_load_dword v89, off, s33 offset:8 ; 4-byte Folded Reload
	;; [unrolled: 1-line block ×26, first 2 shown]
	v_readlane_b32 s30, v79, 4
	v_readlane_b32 s31, v79, 5
	;; [unrolled: 1-line block ×6, first 2 shown]
	s_mov_b32 s32, s33
	v_readlane_b32 s0, v79, 6
	s_or_saveexec_b64 s[2:3], -1
	scratch_load_dword v79, off, s33 offset:108 ; 4-byte Folded Reload
	s_mov_b64 exec, s[2:3]
	s_mov_b32 s33, s0
	s_waitcnt vmcnt(0) lgkmcnt(0)
	s_setpc_b64 s[30:31]
.Lfunc_end8:
	.size	_Z10BuildSubgriiPN2rw7LibraryEPimS2_S2_S2_S2_S2_PNS_9TableNodeEi, .Lfunc_end8-_Z10BuildSubgriiPN2rw7LibraryEPimS2_S2_S2_S2_S2_PNS_9TableNodeEi
                                        ; -- End function
	.set .L_Z10BuildSubgriiPN2rw7LibraryEPimS2_S2_S2_S2_S2_PNS_9TableNodeEi.num_vgpr, 92
	.set .L_Z10BuildSubgriiPN2rw7LibraryEPimS2_S2_S2_S2_S2_PNS_9TableNodeEi.num_agpr, 0
	.set .L_Z10BuildSubgriiPN2rw7LibraryEPimS2_S2_S2_S2_S2_PNS_9TableNodeEi.numbered_sgpr, 38
	.set .L_Z10BuildSubgriiPN2rw7LibraryEPimS2_S2_S2_S2_S2_PNS_9TableNodeEi.num_named_barrier, 0
	.set .L_Z10BuildSubgriiPN2rw7LibraryEPimS2_S2_S2_S2_S2_PNS_9TableNodeEi.private_seg_size, 128
	.set .L_Z10BuildSubgriiPN2rw7LibraryEPimS2_S2_S2_S2_S2_PNS_9TableNodeEi.uses_vcc, 1
	.set .L_Z10BuildSubgriiPN2rw7LibraryEPimS2_S2_S2_S2_S2_PNS_9TableNodeEi.uses_flat_scratch, 0
	.set .L_Z10BuildSubgriiPN2rw7LibraryEPimS2_S2_S2_S2_S2_PNS_9TableNodeEi.has_dyn_sized_stack, 0
	.set .L_Z10BuildSubgriiPN2rw7LibraryEPimS2_S2_S2_S2_S2_PNS_9TableNodeEi.has_recursion, 1
	.set .L_Z10BuildSubgriiPN2rw7LibraryEPimS2_S2_S2_S2_S2_PNS_9TableNodeEi.has_indirect_call, 0
	.section	.AMDGPU.csdata,"",@progbits
; Function info:
; codeLenInByte = 3856
; TotalNumSgprs: 44
; NumVgprs: 92
; NumAgprs: 0
; TotalNumVgprs: 92
; ScratchSize: 128
; MemoryBound: 0
	.text
	.protected	_Z12ReplaceSubgriPiS_S_S_S_PN2rw3CutEPNS0_7LibraryEPNS0_9TableNodeES6_S_S_ ; -- Begin function _Z12ReplaceSubgriPiS_S_S_S_PN2rw3CutEPNS0_7LibraryEPNS0_9TableNodeES6_S_S_
	.globl	_Z12ReplaceSubgriPiS_S_S_S_PN2rw3CutEPNS0_7LibraryEPNS0_9TableNodeES6_S_S_
	.p2align	8
	.type	_Z12ReplaceSubgriPiS_S_S_S_PN2rw3CutEPNS0_7LibraryEPNS0_9TableNodeES6_S_S_,@function
_Z12ReplaceSubgriPiS_S_S_S_PN2rw3CutEPNS0_7LibraryEPNS0_9TableNodeES6_S_S_: ; @_Z12ReplaceSubgriPiS_S_S_S_PN2rw3CutEPNS0_7LibraryEPNS0_9TableNodeES6_S_S_
; %bb.0:
	s_load_dword s3, s[0:1], 0x6c
	s_load_dword s33, s[0:1], 0x0
	s_movk_i32 s32, 0x100
	s_waitcnt lgkmcnt(0)
	s_and_b32 s3, s3, 0xffff
	s_mul_i32 s2, s2, s3
	v_add_u32_e32 v40, s2, v0
	v_cmp_gt_u32_e32 vcc, s33, v40
	s_and_saveexec_b64 s[2:3], vcc
	s_cbranch_execz .LBB9_39
; %bb.1:
	s_load_dwordx16 s[4:19], s[0:1], 0x8
	s_waitcnt lgkmcnt(0)
	v_mov_b32_e32 v0, s14
	v_mov_b32_e32 v1, s15
	v_mad_i64_i32 v[8:9], s[2:3], v40, 28, v[0:1]
	global_load_dwordx4 v[0:3], v[8:9], off offset:40
	global_load_dwordx4 v[4:7], v[8:9], off offset:28
	s_waitcnt vmcnt(1)
	scratch_store_dwordx4 off, v[0:3], off offset:12
	scratch_load_ubyte v0, off, off offset:24
	s_waitcnt vmcnt(0)
	v_cmp_ne_u16_e32 vcc, 0, v0
	scratch_store_dwordx4 off, v[4:7], off
	s_and_b64 exec, exec, vcc
	s_cbranch_execz .LBB9_39
; %bb.2:
	scratch_load_dword v1, off, off offset:20
	s_waitcnt vmcnt(0)
	v_bfe_u32 v0, v1, 27, 4
	v_cmp_lt_u32_e32 vcc, 2, v0
	s_and_b64 exec, exec, vcc
	s_cbranch_execz .LBB9_39
; %bb.3:
	v_ashrrev_i32_e32 v41, 31, v40
	v_cmp_eq_u32_e32 vcc, 3, v0
	s_and_saveexec_b64 s[2:3], vcc
	s_cbranch_execz .LBB9_5
; %bb.4:
	v_and_b32_e32 v0, 0x87ffffff, v1
	v_or_b32_e32 v1, 0x20000000, v0
	v_mov_b32_e32 v0, 0
	scratch_store_dwordx2 off, v[0:1], off offset:16
.LBB9_5:
	s_or_b64 exec, exec, s[2:3]
	v_mov_b32_e32 v0, 2
	v_lshlrev_b32_sdwa v6, v0, v1 dst_sel:DWORD dst_unused:UNUSED_PAD src0_sel:DWORD src1_sel:WORD_0
	v_mov_b32_e32 v7, 0
	v_lshl_add_u64 v[0:1], s[16:17], 0, v[6:7]
	v_add_co_u32_e32 v2, vcc, 0x80000, v0
	s_mov_b64 s[2:3], vcc
	v_add_co_u32_e32 v4, vcc, 0x40000, v0
	s_mov_b32 s20, -1
	s_nop 0
	v_addc_co_u32_e32 v5, vcc, 0, v1, vcc
	global_load_dword v0, v[4:5], off
	v_addc_co_u32_e64 v3, vcc, 0, v1, s[2:3]
	global_load_dword v2, v[2:3], off offset:384
	v_mov_b32_e32 v4, s4
	v_mov_b32_e32 v5, s5
	v_lshl_add_u64 v[4:5], v[40:41], 2, v[4:5]
	global_load_dword v4, v[4:5], off offset:4
	s_mov_b32 s2, 0x80000
	s_mov_b32 s4, 0
	;; [unrolled: 1-line block ×5, first 2 shown]
	s_waitcnt vmcnt(2)
	v_ashrrev_i32_e32 v1, 31, v0
	v_lshl_add_u64 v[0:1], v[0:1], 4, s[16:17]
	v_add_co_u32_e32 v0, vcc, s2, v0
	s_movk_i32 s2, 0x50
	s_nop 0
	v_addc_co_u32_e32 v1, vcc, 0, v1, vcc
	global_load_dwordx4 v[8:11], v[0:1], off
	v_mov_b64_e32 v[0:1], s[16:17]
	s_waitcnt vmcnt(1)
	v_ashrrev_i32_e32 v5, 31, v4
	v_mad_i64_i32 v[0:1], s[2:3], v2, s2, v[0:1]
	v_lshl_add_u64 v[0:1], v[4:5], 2, v[0:1]
	v_add_co_u32_e32 v0, vcc, 0xc0000, v0
	s_waitcnt vmcnt(0)
	v_lshlrev_b32_e32 v3, 2, v9
	v_addc_co_u32_e32 v1, vcc, 0, v1, vcc
	global_load_dword v0, v[0:1], off offset:2160
	v_lshlrev_b32_e32 v1, 2, v8
	v_lshlrev_b32_e32 v4, 2, v10
	v_lshlrev_b32_e32 v5, 2, v11
	v_add3_u32 v12, s4, v1, 4
	v_add3_u32 v3, s4, v3, 4
	;; [unrolled: 1-line block ×4, first 2 shown]
	scratch_load_dword v8, v12, off
	scratch_load_dword v9, v3, off
	;; [unrolled: 1-line block ×4, first 2 shown]
	global_load_dword v1, v6, s[16:17]
	v_mov_b32_e32 v4, -1
	v_mov_b32_e32 v5, v4
	v_mov_b64_e32 v[12:13], s[20:21]
	v_mov_b64_e32 v[14:15], s[22:23]
	scratch_store_dwordx2 off, v[4:5], off offset:240
	scratch_store_dwordx4 off, v[12:15], off offset:48
	scratch_store_dwordx4 off, v[12:15], off offset:64
	;; [unrolled: 1-line block ×12, first 2 shown]
	v_ashrrev_i32_e32 v3, 31, v2
	s_waitcnt vmcnt(18)
	v_lshlrev_b64 v[4:5], v0, 1
	v_cmp_lt_i32_e32 vcc, 3, v0
	s_waitcnt vmcnt(14)
	scratch_store_dwordx4 off, v[8:11], off offset:32
	s_and_saveexec_b64 s[2:3], vcc
	s_cbranch_execz .LBB9_11
; %bb.6:
	v_add_u32_e32 v6, -4, v0
	v_lshlrev_b64 v[6:7], 2, v[6:7]
	s_movk_i32 s4, 0xf0
	v_mad_i64_i32 v[6:7], s[4:5], v2, s4, v[6:7]
	v_lshl_add_u64 v[6:7], s[16:17], 0, v[6:7]
	s_mov_b64 s[4:5], 0xc4dd0
	v_lshl_add_u64 v[6:7], v[6:7], 0, s[4:5]
	s_mov_b64 s[4:5], 0
	s_mov_b64 s[14:15], 0
	s_branch .LBB9_8
.LBB9_7:                                ;   in Loop: Header=BB9_8 Depth=1
	s_or_b64 exec, exec, s[20:21]
	s_add_u32 s14, s14, -1
	v_add3_u32 v8, v0, s14, 1
	s_addc_u32 s15, s15, -1
	v_cmp_gt_u32_e32 vcc, 5, v8
	s_or_b64 s[4:5], vcc, s[4:5]
	v_lshl_add_u64 v[6:7], v[6:7], 0, -4
	s_andn2_b64 exec, exec, s[4:5]
	s_cbranch_execz .LBB9_10
.LBB9_8:                                ; =>This Inner Loop Header: Depth=1
	v_add_u32_e32 v8, s14, v0
	v_lshrrev_b64 v[8:9], v8, v[4:5]
	v_and_b32_e32 v8, 1, v8
	v_cmp_eq_u32_e32 vcc, 1, v8
	s_and_saveexec_b64 s[20:21], vcc
	s_cbranch_execz .LBB9_7
; %bb.9:                                ;   in Loop: Header=BB9_8 Depth=1
	v_add_co_u32_e32 v8, vcc, 0xd000, v6
	s_nop 1
	v_addc_co_u32_e32 v9, vcc, 0, v7, vcc
	global_load_dword v10, v[6:7], off
	global_load_dword v11, v[8:9], off offset:32
	s_waitcnt vmcnt(1)
	v_lshlrev_b64 v[8:9], v10, 1
	s_waitcnt vmcnt(0)
	v_lshlrev_b64 v[10:11], v11, 1
	v_or3_b32 v5, v9, v11, v5
	v_or3_b32 v4, v8, v10, v4
	s_branch .LBB9_7
.LBB9_10:
	s_or_b64 exec, exec, s[4:5]
.LBB9_11:
	s_or_b64 exec, exec, s[2:3]
	v_lshl_add_u64 v[6:7], v[2:3], 2, s[16:17]
	v_add_co_u32_e32 v6, vcc, 0xc0000, v6
	v_mov_b32_e32 v8, 0
	s_nop 0
	v_addc_co_u32_e32 v7, vcc, 0, v7, vcc
	global_load_dword v3, v[6:7], off offset:384
	s_waitcnt vmcnt(15)
	v_and_b32_e32 v6, 15, v1
	v_mov_b32_e32 v7, v8
	s_mov_b32 s15, 0
	s_waitcnt vmcnt(0)
	v_cmp_lt_i32_e32 vcc, 0, v3
	s_and_saveexec_b64 s[20:21], vcc
	s_cbranch_execz .LBB9_37
; %bb.12:
	s_movk_i32 s2, 0xf0
	v_mov_b64_e32 v[10:11], s[16:17]
	v_mad_i64_i32 v[16:17], s[2:3], v2, s2, v[10:11]
	s_mov_b64 s[2:3], 0xc4dd0
	s_nop 0
	v_lshl_add_u64 v[10:11], v[16:17], 0, s[2:3]
	s_mov_b64 s[2:3], 0xd1df0
	v_lshl_add_u64 v[12:13], v[16:17], 0, s[2:3]
	s_mov_b64 s[2:3], 0xdee10
	;; [unrolled: 2-line block ×3, first 2 shown]
	v_lshl_add_u64 v[16:17], v[16:17], 0, s[2:3]
	s_getpc_b64 s[2:3]
	s_add_u32 s2, s2, P@rel32@lo+4
	s_addc_u32 s3, s3, P@rel32@hi+12
	s_load_dwordx2 s[22:23], s[2:3], 0x0
	s_mov_b64 s[24:25], 0
	s_movk_i32 s44, 0x1f01
	s_movk_i32 s45, 0xb9b
	;; [unrolled: 1-line block ×4, first 2 shown]
	v_mov_b32_e32 v22, 32
	s_mov_b32 s14, s15
	s_branch .LBB9_14
.LBB9_13:                               ;   in Loop: Header=BB9_14 Depth=1
	s_or_b64 exec, exec, s[26:27]
	s_add_i32 s14, s14, 1
	v_cmp_eq_u32_e32 vcc, s14, v3
	s_or_b64 s[24:25], vcc, s[24:25]
	s_andn2_b64 exec, exec, s[24:25]
	s_cbranch_execz .LBB9_37
.LBB9_14:                               ; =>This Loop Header: Depth=1
                                        ;     Child Loop BB9_26 Depth 2
	s_add_i32 s2, s14, 4
	v_lshrrev_b64 v[18:19], s2, v[4:5]
	v_and_b32_e32 v1, 1, v18
	v_cmp_eq_u32_e32 vcc, 1, v1
	s_and_saveexec_b64 s[26:27], vcc
	s_cbranch_execz .LBB9_13
; %bb.15:                               ;   in Loop: Header=BB9_14 Depth=1
	v_lshl_add_u64 v[18:19], s[14:15], 2, v[10:11]
	global_load_dword v9, v[18:19], off
	s_waitcnt vmcnt(0)
	v_lshl_add_u32 v1, v9, 2, v22
	scratch_load_dword v23, v1, off
	s_waitcnt vmcnt(0)
	v_cmp_ne_u32_e32 vcc, -1, v23
	s_and_b64 exec, exec, vcc
	s_cbranch_execz .LBB9_13
; %bb.16:                               ;   in Loop: Header=BB9_14 Depth=1
	v_lshl_add_u64 v[18:19], s[14:15], 2, v[12:13]
	global_load_dword v18, v[18:19], off
	s_waitcnt vmcnt(0)
	v_lshl_add_u32 v1, v18, 2, v22
	scratch_load_dword v1, v1, off
	s_waitcnt vmcnt(0)
	v_cmp_ne_u32_e32 vcc, -1, v1
	s_and_b64 exec, exec, vcc
	s_cbranch_execz .LBB9_13
; %bb.17:                               ;   in Loop: Header=BB9_14 Depth=1
	s_lshl_b64 s[2:3], s[14:15], 2
	v_lshl_add_u64 v[20:21], v[14:15], 0, s[2:3]
	v_lshl_add_u64 v[24:25], v[16:17], 0, s[2:3]
	global_load_dword v26, v[20:21], off
	global_load_dword v27, v[24:25], off
	v_lshrrev_b64 v[18:19], v18, v[6:7]
	v_lshrrev_b64 v[20:21], v9, v[6:7]
	v_cmp_gt_i32_e32 vcc, v23, v1
	s_waitcnt vmcnt(1)
	v_bitop3_b32 v24, v26, v20, 1 bitop3:0x78
	s_waitcnt vmcnt(0)
	v_bitop3_b32 v9, v27, v18, 1 bitop3:0x78
	v_mov_b32_e32 v25, v9
	v_mov_b32_e32 v26, v1
	s_and_saveexec_b64 s[2:3], vcc
; %bb.18:                               ;   in Loop: Header=BB9_14 Depth=1
	v_mov_b32_e32 v25, v24
	v_mov_b32_e32 v24, v9
	;; [unrolled: 1-line block ×4, first 2 shown]
; %bb.19:                               ;   in Loop: Header=BB9_14 Depth=1
	s_or_b64 exec, exec, s[2:3]
	s_waitcnt lgkmcnt(0)
	s_load_dword s30, s[22:23], 0x0
	v_mul_lo_u32 v18, v24, s46
	v_mul_lo_u32 v19, v25, s47
	;; [unrolled: 1-line block ×3, first 2 shown]
	v_xor_b32_e32 v18, v18, v19
	v_mul_lo_u32 v1, v23, s44
	v_xor_b32_e32 v9, v18, v9
	v_xor_b32_e32 v20, v9, v1
	v_ashrrev_i32_e32 v1, 31, v20
	s_waitcnt lgkmcnt(0)
	s_ashr_i32 s31, s30, 31
	v_or_b32_e32 v9, s31, v1
	v_cmp_ne_u64_e32 vcc, 0, v[8:9]
                                        ; implicit-def: $vgpr18_vgpr19
	s_and_saveexec_b64 s[2:3], vcc
	s_xor_b64 s[28:29], exec, s[2:3]
	s_cbranch_execz .LBB9_21
; %bb.20:                               ;   in Loop: Header=BB9_14 Depth=1
	v_cvt_f32_u32_e32 v9, s30
	v_cvt_f32_u32_e32 v18, s31
	s_sub_u32 s4, 0, s30
	s_subb_u32 s5, 0, s31
	v_mov_b32_e32 v29, v8
	v_fmac_f32_e32 v9, 0x4f800000, v18
	v_rcp_f32_e32 v9, v9
	s_nop 0
	v_mul_f32_e32 v9, 0x5f7ffffc, v9
	v_mul_f32_e32 v18, 0x2f800000, v9
	v_trunc_f32_e32 v18, v18
	v_fmac_f32_e32 v9, 0xcf800000, v18
	v_cvt_u32_f32_e32 v18, v18
	v_cvt_u32_f32_e32 v9, v9
	v_readfirstlane_b32 s34, v18
	v_readfirstlane_b32 s2, v9
	s_mul_i32 s3, s4, s34
	s_mul_hi_u32 s36, s4, s2
	s_mul_i32 s35, s5, s2
	s_add_i32 s3, s36, s3
	s_mul_i32 s37, s4, s2
	s_add_i32 s3, s3, s35
	s_mul_i32 s36, s2, s3
	s_mul_hi_u32 s38, s2, s37
	s_mul_hi_u32 s35, s2, s3
	s_add_u32 s36, s38, s36
	s_addc_u32 s35, 0, s35
	s_mul_hi_u32 s39, s34, s37
	s_mul_i32 s37, s34, s37
	s_add_u32 s36, s36, s37
	s_mul_hi_u32 s38, s34, s3
	s_addc_u32 s35, s35, s39
	s_addc_u32 s36, s38, 0
	s_mul_i32 s3, s34, s3
	s_add_u32 s3, s35, s3
	s_addc_u32 s35, 0, s36
	s_add_u32 s36, s2, s3
	s_cselect_b64 s[2:3], -1, 0
	s_cmp_lg_u64 s[2:3], 0
	s_addc_u32 s34, s34, s35
	s_mul_i32 s2, s4, s34
	s_mul_hi_u32 s3, s4, s36
	s_add_i32 s2, s3, s2
	s_mul_i32 s5, s5, s36
	s_add_i32 s2, s2, s5
	s_mul_i32 s4, s4, s36
	s_mul_hi_u32 s5, s34, s4
	s_mul_i32 s35, s34, s4
	s_mul_i32 s38, s36, s2
	s_mul_hi_u32 s4, s36, s4
	s_mul_hi_u32 s37, s36, s2
	s_add_u32 s4, s4, s38
	s_addc_u32 s37, 0, s37
	s_add_u32 s4, s4, s35
	s_mul_hi_u32 s3, s34, s2
	s_addc_u32 s4, s37, s5
	s_addc_u32 s3, s3, 0
	s_mul_i32 s2, s34, s2
	s_add_u32 s2, s4, s2
	s_addc_u32 s4, 0, s3
	s_add_u32 s5, s36, s2
	s_cselect_b64 s[2:3], -1, 0
	s_cmp_lg_u64 s[2:3], 0
	s_addc_u32 s4, s34, s4
	v_mad_u64_u32 v[18:19], s[2:3], v20, s4, 0
	v_mul_hi_u32 v28, v20, s5
	v_lshl_add_u64 v[18:19], v[28:29], 0, v[18:19]
	v_mad_u64_u32 v[30:31], s[2:3], v1, s5, 0
	v_add_co_u32_e32 v9, vcc, v18, v30
	v_mad_u64_u32 v[28:29], s[2:3], v1, s4, 0
	s_nop 0
	v_addc_co_u32_e32 v18, vcc, v19, v31, vcc
	v_mov_b32_e32 v19, v8
	s_nop 0
	v_addc_co_u32_e32 v29, vcc, 0, v29, vcc
	v_lshl_add_u64 v[18:19], v[18:19], 0, v[28:29]
	v_mul_lo_u32 v9, s31, v18
	v_mul_lo_u32 v21, s30, v19
	v_mad_u64_u32 v[18:19], s[2:3], s30, v18, 0
	v_add3_u32 v9, v19, v21, v9
	v_sub_u32_e32 v19, v1, v9
	v_mov_b32_e32 v21, s31
	v_sub_co_u32_e32 v18, vcc, v20, v18
	s_nop 1
	v_subb_co_u32_e64 v19, s[2:3], v19, v21, vcc
	v_subrev_co_u32_e64 v20, s[2:3], s30, v18
	v_subb_co_u32_e32 v1, vcc, v1, v9, vcc
	s_nop 0
	v_subbrev_co_u32_e64 v27, s[4:5], 0, v19, s[2:3]
	v_cmp_le_u32_e64 s[4:5], s31, v27
	v_subb_co_u32_e64 v19, s[2:3], v19, v21, s[2:3]
	s_nop 0
	v_cndmask_b32_e64 v28, 0, -1, s[4:5]
	v_cmp_le_u32_e64 s[4:5], s30, v20
	v_subrev_co_u32_e64 v21, s[2:3], s30, v20
	s_nop 0
	v_cndmask_b32_e64 v29, 0, -1, s[4:5]
	v_cmp_eq_u32_e64 s[4:5], s31, v27
	v_subbrev_co_u32_e64 v19, s[2:3], 0, v19, s[2:3]
	s_nop 0
	v_cndmask_b32_e64 v28, v28, v29, s[4:5]
	v_cmp_le_u32_e32 vcc, s31, v1
	v_cmp_ne_u32_e64 s[2:3], 0, v28
	s_nop 0
	v_cndmask_b32_e64 v9, 0, -1, vcc
	v_cmp_le_u32_e32 vcc, s30, v18
	v_cndmask_b32_e64 v19, v27, v19, s[2:3]
	s_nop 0
	v_cndmask_b32_e64 v27, 0, -1, vcc
	v_cmp_eq_u32_e32 vcc, s31, v1
	s_nop 1
	v_cndmask_b32_e32 v9, v9, v27, vcc
	v_cmp_ne_u32_e32 vcc, 0, v9
	s_nop 1
	v_cndmask_b32_e32 v19, v1, v19, vcc
	v_cndmask_b32_e64 v1, v20, v21, s[2:3]
	v_cndmask_b32_e32 v18, v18, v1, vcc
                                        ; implicit-def: $vgpr20_vgpr21
.LBB9_21:                               ;   in Loop: Header=BB9_14 Depth=1
	s_andn2_saveexec_b64 s[2:3], s[28:29]
	s_cbranch_execz .LBB9_23
; %bb.22:                               ;   in Loop: Header=BB9_14 Depth=1
	v_cvt_f32_u32_e32 v1, s30
	s_sub_i32 s4, 0, s30
	v_mov_b32_e32 v19, v8
	v_rcp_iflag_f32_e32 v1, v1
	s_nop 0
	v_mul_f32_e32 v1, 0x4f7ffffe, v1
	v_cvt_u32_f32_e32 v1, v1
	v_mul_lo_u32 v9, s4, v1
	v_mul_hi_u32 v9, v1, v9
	v_add_u32_e32 v1, v1, v9
	v_mul_hi_u32 v1, v20, v1
	v_mul_lo_u32 v1, v1, s30
	v_sub_u32_e32 v1, v20, v1
	v_subrev_u32_e32 v9, s30, v1
	v_cmp_le_u32_e32 vcc, s30, v1
	s_nop 1
	v_cndmask_b32_e32 v1, v1, v9, vcc
	v_subrev_u32_e32 v9, s30, v1
	v_cmp_le_u32_e32 vcc, s30, v1
	s_nop 1
	v_cndmask_b32_e32 v18, v1, v9, vcc
.LBB9_23:                               ;   in Loop: Header=BB9_14 Depth=1
	s_or_b64 exec, exec, s[2:3]
	s_mov_b64 s[2:3], 0
                                        ; implicit-def: $sgpr4_sgpr5
                                        ; implicit-def: $vgpr1
	s_branch .LBB9_26
.LBB9_24:                               ;   in Loop: Header=BB9_26 Depth=2
	s_or_b64 exec, exec, s[36:37]
	s_xor_b64 s[30:31], s[34:35], -1
	s_andn2_b64 s[4:5], s[4:5], exec
	s_and_b64 s[30:31], s[30:31], exec
	s_or_b64 s[4:5], s[4:5], s[30:31]
.LBB9_25:                               ;   in Loop: Header=BB9_26 Depth=2
	s_or_b64 exec, exec, s[28:29]
	s_and_b64 s[28:29], exec, s[4:5]
	s_or_b64 s[2:3], s[28:29], s[2:3]
	v_mov_b32_e32 v1, v20
	s_andn2_b64 exec, exec, s[2:3]
	s_cbranch_execz .LBB9_35
.LBB9_26:                               ;   Parent Loop BB9_14 Depth=1
                                        ; =>  This Inner Loop Header: Depth=2
	v_lshl_add_u64 v[18:19], v[18:19], 3, s[18:19]
	global_load_dword v18, v[18:19], off offset:4
	v_mov_b32_e32 v20, -1
	s_or_b64 s[4:5], s[4:5], exec
	s_waitcnt vmcnt(0)
	v_cmp_ne_u32_e32 vcc, -1, v18
	s_and_saveexec_b64 s[28:29], vcc
	s_cbranch_execz .LBB9_25
; %bb.27:                               ;   in Loop: Header=BB9_26 Depth=2
	v_ashrrev_i32_e32 v19, 31, v18
	v_lshl_add_u64 v[20:21], v[18:19], 3, s[18:19]
	global_load_dword v20, v[20:21], off
	s_waitcnt vmcnt(0)
	v_ashrrev_i32_e32 v21, 31, v20
	v_lshl_add_u64 v[28:29], v[20:21], 2, s[6:7]
	global_load_dword v9, v[28:29], off
	s_waitcnt vmcnt(0)
	v_cmp_ne_u32_e64 s[30:31], v9, v23
	v_cmp_eq_u32_e32 vcc, v9, v23
	s_and_saveexec_b64 s[34:35], vcc
	s_cbranch_execz .LBB9_33
; %bb.28:                               ;   in Loop: Header=BB9_26 Depth=2
	v_lshl_add_u64 v[28:29], v[20:21], 2, s[8:9]
	global_load_dword v9, v[28:29], off
	s_waitcnt vmcnt(0)
	v_cmp_ne_u32_e64 s[36:37], v9, v26
	v_cmp_eq_u32_e32 vcc, v9, v26
	s_and_saveexec_b64 s[38:39], vcc
	s_cbranch_execz .LBB9_32
; %bb.29:                               ;   in Loop: Header=BB9_26 Depth=2
	;; [unrolled: 8-line block ×3, first 2 shown]
	v_lshl_add_u64 v[28:29], v[20:21], 2, s[12:13]
	global_load_dword v9, v[28:29], off
	s_andn2_b64 s[40:41], s[40:41], exec
	s_waitcnt vmcnt(0)
	v_cmp_ne_u32_e32 vcc, v9, v25
	s_and_b64 s[48:49], vcc, exec
	s_or_b64 s[40:41], s[40:41], s[48:49]
.LBB9_31:                               ;   in Loop: Header=BB9_26 Depth=2
	s_or_b64 exec, exec, s[42:43]
	s_andn2_b64 s[36:37], s[36:37], exec
	s_and_b64 s[40:41], s[40:41], exec
	s_or_b64 s[36:37], s[36:37], s[40:41]
.LBB9_32:                               ;   in Loop: Header=BB9_26 Depth=2
	s_or_b64 exec, exec, s[38:39]
	s_andn2_b64 s[30:31], s[30:31], exec
	s_and_b64 s[36:37], s[36:37], exec
	s_or_b64 s[30:31], s[30:31], s[36:37]
.LBB9_33:                               ;   in Loop: Header=BB9_26 Depth=2
	s_or_b64 exec, exec, s[34:35]
	s_mov_b64 s[34:35], 0
	s_and_saveexec_b64 s[36:37], s[30:31]
	s_cbranch_execz .LBB9_24
; %bb.34:                               ;   in Loop: Header=BB9_26 Depth=2
	s_mov_b64 s[34:35], exec
	v_mov_b32_e32 v20, v1
	s_branch .LBB9_24
.LBB9_35:                               ;   in Loop: Header=BB9_14 Depth=1
	s_or_b64 exec, exec, s[2:3]
	v_cmp_ne_u32_e32 vcc, -1, v20
	s_and_b64 exec, exec, vcc
	s_cbranch_execz .LBB9_13
; %bb.36:                               ;   in Loop: Header=BB9_14 Depth=1
	s_lshl_b32 s2, s14, 2
	s_add_i32 s2, s2, 32
	scratch_store_dword off, v20, s2 offset:16
	s_branch .LBB9_13
.LBB9_37:
	s_or_b64 exec, exec, s[20:21]
	v_mov_b32_e32 v1, 32
	v_lshl_add_u32 v42, v0, 2, v1
	scratch_load_dword v1, v42, off
	v_add_u32_e32 v3, 1, v40
	s_waitcnt vmcnt(0)
	v_cmp_ne_u32_e32 vcc, v1, v3
	s_and_b64 exec, exec, vcc
	s_cbranch_execz .LBB9_39
; %bb.38:
	s_load_dwordx4 s[48:51], s[0:1], 0x48
	s_load_dwordx2 s[38:39], s[0:1], 0x58
	s_mov_b64 s[2:3], src_private_base
	s_getpc_b64 s[0:1]
	s_add_u32 s0, s0, _Z10BuildSubgriiPN2rw7LibraryEPimS2_S2_S2_S2_S2_PNS_9TableNodeEi@rel32@lo+4
	s_addc_u32 s1, s1, _Z10BuildSubgriiPN2rw7LibraryEPimS2_S2_S2_S2_S2_PNS_9TableNodeEi@rel32@hi+12
	v_mov_b32_e32 v1, v2
	v_mov_b32_e32 v2, s16
	;; [unrolled: 1-line block ×14, first 2 shown]
	s_waitcnt lgkmcnt(0)
	v_mov_b32_e32 v16, s50
	v_mov_b32_e32 v17, s51
	;; [unrolled: 1-line block ×5, first 2 shown]
	s_swappc_b64 s[30:31], s[0:1]
	scratch_load_dword v0, v42, off
	v_lshlrev_b64 v[2:3], 2, v[40:41]
	v_lshl_add_u64 v[4:5], s[50:51], 0, v[2:3]
	s_waitcnt vmcnt(0)
	v_ashrrev_i32_e32 v1, 31, v0
	v_lshl_add_u64 v[6:7], v[0:1], 2, s[50:51]
	global_load_dword v1, v[6:7], off
	global_load_dword v8, v[4:5], off offset:4
	v_lshlrev_b32_e32 v0, 1, v0
	s_waitcnt vmcnt(0)
	v_xad_u32 v4, v8, v1, v0
	v_lshl_add_u64 v[0:1], s[38:39], 0, v[2:3]
	global_store_dword v[0:1], v4, off offset:4
.LBB9_39:
	s_endpgm
	.section	.rodata,"a",@progbits
	.p2align	6, 0x0
	.amdhsa_kernel _Z12ReplaceSubgriPiS_S_S_S_PN2rw3CutEPNS0_7LibraryEPNS0_9TableNodeES6_S_S_
		.amdhsa_group_segment_fixed_size 0
		.amdhsa_private_segment_fixed_size 384
		.amdhsa_kernarg_size 352
		.amdhsa_user_sgpr_count 2
		.amdhsa_user_sgpr_dispatch_ptr 0
		.amdhsa_user_sgpr_queue_ptr 0
		.amdhsa_user_sgpr_kernarg_segment_ptr 1
		.amdhsa_user_sgpr_dispatch_id 0
		.amdhsa_user_sgpr_kernarg_preload_length 0
		.amdhsa_user_sgpr_kernarg_preload_offset 0
		.amdhsa_user_sgpr_private_segment_size 0
		.amdhsa_uses_dynamic_stack 1
		.amdhsa_enable_private_segment 1
		.amdhsa_system_sgpr_workgroup_id_x 1
		.amdhsa_system_sgpr_workgroup_id_y 0
		.amdhsa_system_sgpr_workgroup_id_z 0
		.amdhsa_system_sgpr_workgroup_info 0
		.amdhsa_system_vgpr_workitem_id 0
		.amdhsa_next_free_vgpr 92
		.amdhsa_next_free_sgpr 52
		.amdhsa_accum_offset 92
		.amdhsa_reserve_vcc 1
		.amdhsa_float_round_mode_32 0
		.amdhsa_float_round_mode_16_64 0
		.amdhsa_float_denorm_mode_32 3
		.amdhsa_float_denorm_mode_16_64 3
		.amdhsa_dx10_clamp 1
		.amdhsa_ieee_mode 1
		.amdhsa_fp16_overflow 0
		.amdhsa_tg_split 0
		.amdhsa_exception_fp_ieee_invalid_op 0
		.amdhsa_exception_fp_denorm_src 0
		.amdhsa_exception_fp_ieee_div_zero 0
		.amdhsa_exception_fp_ieee_overflow 0
		.amdhsa_exception_fp_ieee_underflow 0
		.amdhsa_exception_fp_ieee_inexact 0
		.amdhsa_exception_int_div_zero 0
	.end_amdhsa_kernel
	.text
.Lfunc_end9:
	.size	_Z12ReplaceSubgriPiS_S_S_S_PN2rw3CutEPNS0_7LibraryEPNS0_9TableNodeES6_S_S_, .Lfunc_end9-_Z12ReplaceSubgriPiS_S_S_S_PN2rw3CutEPNS0_7LibraryEPNS0_9TableNodeES6_S_S_
                                        ; -- End function
	.set _Z12ReplaceSubgriPiS_S_S_S_PN2rw3CutEPNS0_7LibraryEPNS0_9TableNodeES6_S_S_.num_vgpr, max(43, .L_Z10BuildSubgriiPN2rw7LibraryEPimS2_S2_S2_S2_S2_PNS_9TableNodeEi.num_vgpr)
	.set _Z12ReplaceSubgriPiS_S_S_S_PN2rw3CutEPNS0_7LibraryEPNS0_9TableNodeES6_S_S_.num_agpr, max(0, .L_Z10BuildSubgriiPN2rw7LibraryEPimS2_S2_S2_S2_S2_PNS_9TableNodeEi.num_agpr)
	.set _Z12ReplaceSubgriPiS_S_S_S_PN2rw3CutEPNS0_7LibraryEPNS0_9TableNodeES6_S_S_.numbered_sgpr, max(52, .L_Z10BuildSubgriiPN2rw7LibraryEPimS2_S2_S2_S2_S2_PNS_9TableNodeEi.numbered_sgpr)
	.set _Z12ReplaceSubgriPiS_S_S_S_PN2rw3CutEPNS0_7LibraryEPNS0_9TableNodeES6_S_S_.num_named_barrier, max(0, .L_Z10BuildSubgriiPN2rw7LibraryEPimS2_S2_S2_S2_S2_PNS_9TableNodeEi.num_named_barrier)
	.set _Z12ReplaceSubgriPiS_S_S_S_PN2rw3CutEPNS0_7LibraryEPNS0_9TableNodeES6_S_S_.private_seg_size, 256+max(.L_Z10BuildSubgriiPN2rw7LibraryEPimS2_S2_S2_S2_S2_PNS_9TableNodeEi.private_seg_size)
	.set _Z12ReplaceSubgriPiS_S_S_S_PN2rw3CutEPNS0_7LibraryEPNS0_9TableNodeES6_S_S_.uses_vcc, or(1, .L_Z10BuildSubgriiPN2rw7LibraryEPimS2_S2_S2_S2_S2_PNS_9TableNodeEi.uses_vcc)
	.set _Z12ReplaceSubgriPiS_S_S_S_PN2rw3CutEPNS0_7LibraryEPNS0_9TableNodeES6_S_S_.uses_flat_scratch, or(0, .L_Z10BuildSubgriiPN2rw7LibraryEPimS2_S2_S2_S2_S2_PNS_9TableNodeEi.uses_flat_scratch)
	.set _Z12ReplaceSubgriPiS_S_S_S_PN2rw3CutEPNS0_7LibraryEPNS0_9TableNodeES6_S_S_.has_dyn_sized_stack, or(0, .L_Z10BuildSubgriiPN2rw7LibraryEPimS2_S2_S2_S2_S2_PNS_9TableNodeEi.has_dyn_sized_stack)
	.set _Z12ReplaceSubgriPiS_S_S_S_PN2rw3CutEPNS0_7LibraryEPNS0_9TableNodeES6_S_S_.has_recursion, or(1, .L_Z10BuildSubgriiPN2rw7LibraryEPimS2_S2_S2_S2_S2_PNS_9TableNodeEi.has_recursion)
	.set _Z12ReplaceSubgriPiS_S_S_S_PN2rw3CutEPNS0_7LibraryEPNS0_9TableNodeES6_S_S_.has_indirect_call, or(0, .L_Z10BuildSubgriiPN2rw7LibraryEPimS2_S2_S2_S2_S2_PNS_9TableNodeEi.has_indirect_call)
	.section	.AMDGPU.csdata,"",@progbits
; Kernel info:
; codeLenInByte = 2812
; TotalNumSgprs: 58
; NumVgprs: 92
; NumAgprs: 0
; TotalNumVgprs: 92
; ScratchSize: 384
; MemoryBound: 0
; FloatMode: 240
; IeeeMode: 1
; LDSByteSize: 0 bytes/workgroup (compile time only)
; SGPRBlocks: 7
; VGPRBlocks: 11
; NumSGPRsForWavesPerEU: 58
; NumVGPRsForWavesPerEU: 92
; AccumOffset: 92
; Occupancy: 5
; WaveLimiterHint : 1
; COMPUTE_PGM_RSRC2:SCRATCH_EN: 1
; COMPUTE_PGM_RSRC2:USER_SGPR: 2
; COMPUTE_PGM_RSRC2:TRAP_HANDLER: 0
; COMPUTE_PGM_RSRC2:TGID_X_EN: 1
; COMPUTE_PGM_RSRC2:TGID_Y_EN: 0
; COMPUTE_PGM_RSRC2:TGID_Z_EN: 0
; COMPUTE_PGM_RSRC2:TIDIG_COMP_CNT: 0
; COMPUTE_PGM_RSRC3_GFX90A:ACCUM_OFFSET: 22
; COMPUTE_PGM_RSRC3_GFX90A:TG_SPLIT: 0
	.text
	.protected	_Z15DetachAndAttachiPiS_S_ ; -- Begin function _Z15DetachAndAttachiPiS_S_
	.globl	_Z15DetachAndAttachiPiS_S_
	.p2align	8
	.type	_Z15DetachAndAttachiPiS_S_,@function
_Z15DetachAndAttachiPiS_S_:             ; @_Z15DetachAndAttachiPiS_S_
; %bb.0:
	s_load_dword s3, s[0:1], 0x2c
	s_load_dword s4, s[0:1], 0x0
	s_waitcnt lgkmcnt(0)
	s_and_b32 s3, s3, 0xffff
	s_mul_i32 s2, s2, s3
	v_add_u32_e32 v0, s2, v0
	v_cmp_gt_u32_e32 vcc, s4, v0
	s_and_saveexec_b64 s[2:3], vcc
	s_cbranch_execz .LBB10_3
; %bb.1:
	s_load_dwordx2 s[2:3], s[0:1], 0x18
	v_ashrrev_i32_e32 v1, 31, v0
	s_waitcnt lgkmcnt(0)
	v_lshl_add_u64 v[2:3], v[0:1], 2, s[2:3]
	global_load_dword v4, v[2:3], off offset:4
	s_waitcnt vmcnt(0)
	v_cmp_ne_u32_e32 vcc, -1, v4
	s_and_b64 exec, exec, vcc
	s_cbranch_execz .LBB10_3
; %bb.2:
	s_load_dwordx4 s[4:7], s[0:1], 0x8
	v_lshlrev_b64 v[0:1], 2, v[0:1]
	v_mov_b32_e32 v6, 1
	s_waitcnt lgkmcnt(0)
	v_lshl_add_u64 v[4:5], s[4:5], 0, v[0:1]
	global_store_dword v[4:5], v6, off offset:4
	global_load_dword v2, v[2:3], off offset:4
	v_lshl_add_u64 v[0:1], s[6:7], 0, v[0:1]
	s_waitcnt vmcnt(0)
	global_store_dword v[0:1], v2, off offset:4
.LBB10_3:
	s_endpgm
	.section	.rodata,"a",@progbits
	.p2align	6, 0x0
	.amdhsa_kernel _Z15DetachAndAttachiPiS_S_
		.amdhsa_group_segment_fixed_size 0
		.amdhsa_private_segment_fixed_size 0
		.amdhsa_kernarg_size 288
		.amdhsa_user_sgpr_count 2
		.amdhsa_user_sgpr_dispatch_ptr 0
		.amdhsa_user_sgpr_queue_ptr 0
		.amdhsa_user_sgpr_kernarg_segment_ptr 1
		.amdhsa_user_sgpr_dispatch_id 0
		.amdhsa_user_sgpr_kernarg_preload_length 0
		.amdhsa_user_sgpr_kernarg_preload_offset 0
		.amdhsa_user_sgpr_private_segment_size 0
		.amdhsa_uses_dynamic_stack 0
		.amdhsa_enable_private_segment 0
		.amdhsa_system_sgpr_workgroup_id_x 1
		.amdhsa_system_sgpr_workgroup_id_y 0
		.amdhsa_system_sgpr_workgroup_id_z 0
		.amdhsa_system_sgpr_workgroup_info 0
		.amdhsa_system_vgpr_workitem_id 0
		.amdhsa_next_free_vgpr 7
		.amdhsa_next_free_sgpr 8
		.amdhsa_accum_offset 8
		.amdhsa_reserve_vcc 1
		.amdhsa_float_round_mode_32 0
		.amdhsa_float_round_mode_16_64 0
		.amdhsa_float_denorm_mode_32 3
		.amdhsa_float_denorm_mode_16_64 3
		.amdhsa_dx10_clamp 1
		.amdhsa_ieee_mode 1
		.amdhsa_fp16_overflow 0
		.amdhsa_tg_split 0
		.amdhsa_exception_fp_ieee_invalid_op 0
		.amdhsa_exception_fp_denorm_src 0
		.amdhsa_exception_fp_ieee_div_zero 0
		.amdhsa_exception_fp_ieee_overflow 0
		.amdhsa_exception_fp_ieee_underflow 0
		.amdhsa_exception_fp_ieee_inexact 0
		.amdhsa_exception_int_div_zero 0
	.end_amdhsa_kernel
	.text
.Lfunc_end10:
	.size	_Z15DetachAndAttachiPiS_S_, .Lfunc_end10-_Z15DetachAndAttachiPiS_S_
                                        ; -- End function
	.set _Z15DetachAndAttachiPiS_S_.num_vgpr, 7
	.set _Z15DetachAndAttachiPiS_S_.num_agpr, 0
	.set _Z15DetachAndAttachiPiS_S_.numbered_sgpr, 8
	.set _Z15DetachAndAttachiPiS_S_.num_named_barrier, 0
	.set _Z15DetachAndAttachiPiS_S_.private_seg_size, 0
	.set _Z15DetachAndAttachiPiS_S_.uses_vcc, 1
	.set _Z15DetachAndAttachiPiS_S_.uses_flat_scratch, 0
	.set _Z15DetachAndAttachiPiS_S_.has_dyn_sized_stack, 0
	.set _Z15DetachAndAttachiPiS_S_.has_recursion, 0
	.set _Z15DetachAndAttachiPiS_S_.has_indirect_call, 0
	.section	.AMDGPU.csdata,"",@progbits
; Kernel info:
; codeLenInByte = 168
; TotalNumSgprs: 14
; NumVgprs: 7
; NumAgprs: 0
; TotalNumVgprs: 7
; ScratchSize: 0
; MemoryBound: 0
; FloatMode: 240
; IeeeMode: 1
; LDSByteSize: 0 bytes/workgroup (compile time only)
; SGPRBlocks: 1
; VGPRBlocks: 0
; NumSGPRsForWavesPerEU: 14
; NumVGPRsForWavesPerEU: 7
; AccumOffset: 8
; Occupancy: 8
; WaveLimiterHint : 0
; COMPUTE_PGM_RSRC2:SCRATCH_EN: 0
; COMPUTE_PGM_RSRC2:USER_SGPR: 2
; COMPUTE_PGM_RSRC2:TRAP_HANDLER: 0
; COMPUTE_PGM_RSRC2:TGID_X_EN: 1
; COMPUTE_PGM_RSRC2:TGID_Y_EN: 0
; COMPUTE_PGM_RSRC2:TGID_Z_EN: 0
; COMPUTE_PGM_RSRC2:TIDIG_COMP_CNT: 0
; COMPUTE_PGM_RSRC3_GFX90A:ACCUM_OFFSET: 1
; COMPUTE_PGM_RSRC3_GFX90A:TG_SPLIT: 0
	.text
	.protected	_Z9printCutsiPN2rw3CutE ; -- Begin function _Z9printCutsiPN2rw3CutE
	.globl	_Z9printCutsiPN2rw3CutE
	.p2align	8
	.type	_Z9printCutsiPN2rw3CutE,@function
_Z9printCutsiPN2rw3CutE:                ; @_Z9printCutsiPN2rw3CutE
; %bb.0:
	s_load_dword s5, s[0:1], 0x0
	s_load_dwordx2 s[2:3], s[0:1], 0x8
	s_load_dwordx2 s[8:9], s[0:1], 0x60
	s_mov_b32 s4, 0
	v_mbcnt_lo_u32_b32 v0, -1, 0
	s_mov_b32 s6, s4
	s_waitcnt lgkmcnt(0)
	s_lshl_b32 s24, s5, 3
	s_getpc_b64 s[0:1]
	s_add_u32 s0, s0, .str.3@rel32@lo+4
	s_addc_u32 s1, s1, .str.3@rel32@hi+12
	s_mov_b32 s7, s4
	v_mbcnt_hi_u32_b32 v36, -1, v0
	v_mov_b32_e32 v3, 0
	s_cmp_lg_u64 s[0:1], 0
	s_mov_b32 s5, s4
	v_mov_b64_e32 v[46:47], s[6:7]
	s_cselect_b64 s[10:11], -1, 0
	v_mov_b64_e32 v[44:45], s[4:5]
	s_movk_i32 s5, 0xff1f
	s_movk_i32 s25, 0xff1d
	v_mov_b32_e32 v6, 2
	v_mov_b32_e32 v7, 1
	v_lshlrev_b32_e32 v38, 6, v36
	v_mov_b32_e32 v8, 33
	v_mov_b32_e32 v9, v3
	;; [unrolled: 1-line block ×4, first 2 shown]
	s_branch .LBB11_2
.LBB11_1:                               ;   in Loop: Header=BB11_2 Depth=1
	s_or_b64 exec, exec, s[12:13]
	s_add_i32 s4, s4, 1
	s_cmp_eq_u32 s4, 8
	s_cbranch_scc1 .LBB11_350
.LBB11_2:                               ; =>This Loop Header: Depth=1
                                        ;     Child Loop BB11_5 Depth 2
                                        ;     Child Loop BB11_13 Depth 2
	;; [unrolled: 1-line block ×9, first 2 shown]
                                        ;       Child Loop BB11_34 Depth 3
                                        ;       Child Loop BB11_42 Depth 3
	;; [unrolled: 1-line block ×11, first 2 shown]
                                        ;     Child Loop BB11_145 Depth 2
                                        ;     Child Loop BB11_153 Depth 2
	;; [unrolled: 1-line block ×32, first 2 shown]
	s_add_i32 s0, s4, s24
	s_mul_hi_i32 s1, s0, 28
	s_mul_i32 s0, s0, 28
	s_add_u32 s0, s2, s0
	s_addc_u32 s1, s3, s1
	global_load_dword v37, v3, s[0:1] offset:20
	global_load_ubyte v41, v3, s[0:1] offset:24
	global_load_dwordx4 v[12:15], v3, s[0:1] offset:4
	v_readfirstlane_b32 s0, v36
	v_mov_b64_e32 v[0:1], 0
	s_nop 0
	v_cmp_eq_u32_e64 s[0:1], s0, v36
	s_and_saveexec_b64 s[6:7], s[0:1]
	s_cbranch_execz .LBB11_8
; %bb.3:                                ;   in Loop: Header=BB11_2 Depth=1
	global_load_dwordx2 v[18:19], v3, s[8:9] offset:24 sc0 sc1
	s_waitcnt vmcnt(0)
	buffer_inv sc0 sc1
	global_load_dwordx2 v[0:1], v3, s[8:9] offset:40
	global_load_dwordx2 v[4:5], v3, s[8:9]
	s_waitcnt vmcnt(1)
	v_and_b32_e32 v0, v0, v18
	v_and_b32_e32 v1, v1, v19
	v_mul_lo_u32 v1, v1, 24
	v_mul_hi_u32 v2, v0, 24
	v_add_u32_e32 v1, v2, v1
	v_mul_lo_u32 v0, v0, 24
	s_waitcnt vmcnt(0)
	v_lshl_add_u64 v[0:1], v[4:5], 0, v[0:1]
	global_load_dwordx2 v[16:17], v[0:1], off sc0 sc1
	s_waitcnt vmcnt(0)
	global_atomic_cmpswap_x2 v[0:1], v3, v[16:19], s[8:9] offset:24 sc0 sc1
	s_waitcnt vmcnt(0)
	buffer_inv sc0 sc1
	v_cmp_ne_u64_e32 vcc, v[0:1], v[18:19]
	s_and_saveexec_b64 s[12:13], vcc
	s_cbranch_execz .LBB11_7
; %bb.4:                                ;   in Loop: Header=BB11_2 Depth=1
	s_mov_b64 s[14:15], 0
.LBB11_5:                               ;   Parent Loop BB11_2 Depth=1
                                        ; =>  This Inner Loop Header: Depth=2
	s_sleep 1
	global_load_dwordx2 v[4:5], v3, s[8:9] offset:40
	global_load_dwordx2 v[16:17], v3, s[8:9]
	v_mov_b64_e32 v[18:19], v[0:1]
	s_waitcnt vmcnt(1)
	v_and_b32_e32 v0, v4, v18
	s_waitcnt vmcnt(0)
	v_mad_u64_u32 v[0:1], s[16:17], v0, 24, v[16:17]
	v_and_b32_e32 v5, v5, v19
	v_mov_b32_e32 v2, v1
	v_mad_u64_u32 v[4:5], s[16:17], v5, 24, v[2:3]
	v_mov_b32_e32 v1, v4
	global_load_dwordx2 v[16:17], v[0:1], off sc0 sc1
	s_waitcnt vmcnt(0)
	global_atomic_cmpswap_x2 v[0:1], v3, v[16:19], s[8:9] offset:24 sc0 sc1
	s_waitcnt vmcnt(0)
	buffer_inv sc0 sc1
	v_cmp_eq_u64_e32 vcc, v[0:1], v[18:19]
	s_or_b64 s[14:15], vcc, s[14:15]
	s_andn2_b64 exec, exec, s[14:15]
	s_cbranch_execnz .LBB11_5
; %bb.6:                                ;   in Loop: Header=BB11_2 Depth=1
	s_or_b64 exec, exec, s[14:15]
.LBB11_7:                               ;   in Loop: Header=BB11_2 Depth=1
	s_or_b64 exec, exec, s[12:13]
.LBB11_8:                               ;   in Loop: Header=BB11_2 Depth=1
	s_or_b64 exec, exec, s[6:7]
	global_load_dwordx2 v[4:5], v3, s[8:9] offset:40
	global_load_dwordx4 v[16:19], v3, s[8:9]
	v_readfirstlane_b32 s7, v1
	v_readfirstlane_b32 s6, v0
	s_mov_b64 s[12:13], exec
	s_waitcnt vmcnt(1)
	v_readfirstlane_b32 s14, v4
	v_readfirstlane_b32 s15, v5
	s_and_b64 s[14:15], s[14:15], s[6:7]
	s_mul_i32 s16, s15, 24
	s_mul_hi_u32 s17, s14, 24
	s_add_i32 s17, s17, s16
	s_mul_i32 s16, s14, 24
	s_waitcnt vmcnt(0)
	v_lshl_add_u64 v[0:1], v[16:17], 0, s[16:17]
	s_and_saveexec_b64 s[16:17], s[0:1]
	s_cbranch_execz .LBB11_10
; %bb.9:                                ;   in Loop: Header=BB11_2 Depth=1
	v_mov_b64_e32 v[4:5], s[12:13]
	global_store_dwordx4 v[0:1], v[4:7], off offset:8
.LBB11_10:                              ;   in Loop: Header=BB11_2 Depth=1
	s_or_b64 exec, exec, s[16:17]
	s_lshl_b64 s[12:13], s[14:15], 12
	v_lshl_add_u64 v[4:5], v[18:19], 0, s[12:13]
	s_nop 0
	v_readfirstlane_b32 s12, v4
	v_readfirstlane_b32 s13, v5
	s_nop 4
	global_store_dwordx4 v38, v[8:11], s[12:13]
	global_store_dwordx4 v38, v[44:47], s[12:13] offset:16
	global_store_dwordx4 v38, v[44:47], s[12:13] offset:32
	;; [unrolled: 1-line block ×3, first 2 shown]
	s_and_saveexec_b64 s[12:13], s[0:1]
	s_cbranch_execz .LBB11_18
; %bb.11:                               ;   in Loop: Header=BB11_2 Depth=1
	global_load_dwordx2 v[24:25], v3, s[8:9] offset:32 sc0 sc1
	global_load_dwordx2 v[18:19], v3, s[8:9] offset:40
	v_mov_b32_e32 v22, s6
	v_mov_b32_e32 v23, s7
	s_waitcnt vmcnt(0)
	v_readfirstlane_b32 s14, v18
	v_readfirstlane_b32 s15, v19
	s_and_b64 s[14:15], s[14:15], s[6:7]
	s_mul_i32 s15, s15, 24
	s_mul_hi_u32 s16, s14, 24
	s_mul_i32 s14, s14, 24
	s_add_i32 s15, s16, s15
	v_lshl_add_u64 v[20:21], v[16:17], 0, s[14:15]
	global_store_dwordx2 v[20:21], v[24:25], off
	buffer_wbl2 sc0 sc1
	s_waitcnt vmcnt(0)
	global_atomic_cmpswap_x2 v[18:19], v3, v[22:25], s[8:9] offset:32 sc0 sc1
	s_waitcnt vmcnt(0)
	v_cmp_ne_u64_e32 vcc, v[18:19], v[24:25]
	s_and_saveexec_b64 s[14:15], vcc
	s_cbranch_execz .LBB11_14
; %bb.12:                               ;   in Loop: Header=BB11_2 Depth=1
	s_mov_b64 s[16:17], 0
.LBB11_13:                              ;   Parent Loop BB11_2 Depth=1
                                        ; =>  This Inner Loop Header: Depth=2
	s_sleep 1
	global_store_dwordx2 v[20:21], v[18:19], off
	v_mov_b32_e32 v16, s6
	v_mov_b32_e32 v17, s7
	buffer_wbl2 sc0 sc1
	s_waitcnt vmcnt(0)
	global_atomic_cmpswap_x2 v[16:17], v3, v[16:19], s[8:9] offset:32 sc0 sc1
	s_waitcnt vmcnt(0)
	v_cmp_eq_u64_e32 vcc, v[16:17], v[18:19]
	s_or_b64 s[16:17], vcc, s[16:17]
	v_mov_b64_e32 v[18:19], v[16:17]
	s_andn2_b64 exec, exec, s[16:17]
	s_cbranch_execnz .LBB11_13
.LBB11_14:                              ;   in Loop: Header=BB11_2 Depth=1
	s_or_b64 exec, exec, s[14:15]
	global_load_dwordx2 v[16:17], v3, s[8:9] offset:16
	s_mov_b64 s[16:17], exec
	v_mbcnt_lo_u32_b32 v2, s16, 0
	v_mbcnt_hi_u32_b32 v2, s17, v2
	v_cmp_eq_u32_e32 vcc, 0, v2
	s_and_saveexec_b64 s[14:15], vcc
	s_cbranch_execz .LBB11_16
; %bb.15:                               ;   in Loop: Header=BB11_2 Depth=1
	s_bcnt1_i32_b64 s16, s[16:17]
	v_mov_b32_e32 v2, s16
	buffer_wbl2 sc0 sc1
	s_waitcnt vmcnt(0)
	global_atomic_add_x2 v[16:17], v[2:3], off offset:8 sc1
.LBB11_16:                              ;   in Loop: Header=BB11_2 Depth=1
	s_or_b64 exec, exec, s[14:15]
	s_waitcnt vmcnt(0)
	global_load_dwordx2 v[18:19], v[16:17], off offset:16
	s_waitcnt vmcnt(0)
	v_cmp_eq_u64_e32 vcc, 0, v[18:19]
	s_cbranch_vccnz .LBB11_18
; %bb.17:                               ;   in Loop: Header=BB11_2 Depth=1
	global_load_dword v2, v[16:17], off offset:24
	s_waitcnt vmcnt(0)
	v_readfirstlane_b32 s14, v2
	s_and_b32 m0, s14, 0xffffff
	buffer_wbl2 sc0 sc1
	global_store_dwordx2 v[18:19], v[2:3], off sc0 sc1
	s_sendmsg sendmsg(MSG_INTERRUPT)
.LBB11_18:                              ;   in Loop: Header=BB11_2 Depth=1
	s_or_b64 exec, exec, s[12:13]
	v_mov_b32_e32 v39, v3
	v_lshl_add_u64 v[4:5], v[4:5], 0, v[38:39]
	s_branch .LBB11_22
.LBB11_19:                              ;   in Loop: Header=BB11_22 Depth=2
	s_or_b64 exec, exec, s[12:13]
	v_readfirstlane_b32 s12, v2
	s_cmp_eq_u32 s12, 0
	s_cbranch_scc1 .LBB11_21
; %bb.20:                               ;   in Loop: Header=BB11_22 Depth=2
	s_sleep 1
	s_cbranch_execnz .LBB11_22
	s_branch .LBB11_24
.LBB11_21:                              ;   in Loop: Header=BB11_2 Depth=1
	s_branch .LBB11_24
.LBB11_22:                              ;   Parent Loop BB11_2 Depth=1
                                        ; =>  This Inner Loop Header: Depth=2
	v_mov_b32_e32 v2, 1
	s_and_saveexec_b64 s[12:13], s[0:1]
	s_cbranch_execz .LBB11_19
; %bb.23:                               ;   in Loop: Header=BB11_22 Depth=2
	global_load_dword v2, v[0:1], off offset:20 sc0 sc1
	s_waitcnt vmcnt(0)
	buffer_inv sc0 sc1
	v_and_b32_e32 v2, 1, v2
	s_branch .LBB11_19
.LBB11_24:                              ;   in Loop: Header=BB11_2 Depth=1
	global_load_dwordx2 v[0:1], v[4:5], off
	s_and_saveexec_b64 s[12:13], s[0:1]
	s_cbranch_execz .LBB11_28
; %bb.25:                               ;   in Loop: Header=BB11_2 Depth=1
	global_load_dwordx2 v[4:5], v3, s[8:9] offset:40
	global_load_dwordx2 v[20:21], v3, s[8:9] offset:24 sc0 sc1
	global_load_dwordx2 v[16:17], v3, s[8:9]
	s_waitcnt vmcnt(2)
	v_readfirstlane_b32 s14, v4
	v_readfirstlane_b32 s15, v5
	s_add_u32 s16, s14, 1
	s_addc_u32 s17, s15, 0
	s_add_u32 s0, s16, s6
	s_addc_u32 s1, s17, s7
	s_cmp_eq_u64 s[0:1], 0
	s_cselect_b32 s1, s17, s1
	s_cselect_b32 s0, s16, s0
	s_and_b64 s[6:7], s[0:1], s[14:15]
	s_mul_i32 s7, s7, 24
	s_mul_hi_u32 s14, s6, 24
	s_mul_i32 s6, s6, 24
	s_add_i32 s7, s14, s7
	s_waitcnt vmcnt(0)
	v_lshl_add_u64 v[4:5], v[16:17], 0, s[6:7]
	v_mov_b32_e32 v18, s0
	global_store_dwordx2 v[4:5], v[20:21], off
	v_mov_b32_e32 v19, s1
	buffer_wbl2 sc0 sc1
	s_waitcnt vmcnt(0)
	global_atomic_cmpswap_x2 v[18:19], v3, v[18:21], s[8:9] offset:24 sc0 sc1
	s_waitcnt vmcnt(0)
	v_cmp_ne_u64_e32 vcc, v[18:19], v[20:21]
	s_and_b64 exec, exec, vcc
	s_cbranch_execz .LBB11_28
; %bb.26:                               ;   in Loop: Header=BB11_2 Depth=1
	s_mov_b64 s[6:7], 0
.LBB11_27:                              ;   Parent Loop BB11_2 Depth=1
                                        ; =>  This Inner Loop Header: Depth=2
	s_sleep 1
	global_store_dwordx2 v[4:5], v[18:19], off
	v_mov_b32_e32 v16, s0
	v_mov_b32_e32 v17, s1
	buffer_wbl2 sc0 sc1
	s_waitcnt vmcnt(0)
	global_atomic_cmpswap_x2 v[16:17], v3, v[16:19], s[8:9] offset:24 sc0 sc1
	s_waitcnt vmcnt(0)
	v_cmp_eq_u64_e32 vcc, v[16:17], v[18:19]
	s_or_b64 s[6:7], vcc, s[6:7]
	v_mov_b64_e32 v[18:19], v[16:17]
	s_andn2_b64 exec, exec, s[6:7]
	s_cbranch_execnz .LBB11_27
.LBB11_28:                              ;   in Loop: Header=BB11_2 Depth=1
	s_or_b64 exec, exec, s[12:13]
	s_and_b64 vcc, exec, s[10:11]
	s_cbranch_vccz .LBB11_114
; %bb.29:                               ;   in Loop: Header=BB11_2 Depth=1
	s_waitcnt vmcnt(0)
	v_and_b32_e32 v40, 2, v0
	v_and_b32_e32 v16, -3, v0
	v_mov_b32_e32 v17, v1
	s_mov_b64 s[12:13], 0x47
	s_getpc_b64 s[6:7]
	s_add_u32 s6, s6, .str.3@rel32@lo+4
	s_addc_u32 s7, s7, .str.3@rel32@hi+12
	s_branch .LBB11_31
.LBB11_30:                              ;   in Loop: Header=BB11_31 Depth=2
	s_or_b64 exec, exec, s[18:19]
	s_sub_u32 s12, s12, s14
	s_subb_u32 s13, s13, s15
	s_add_u32 s6, s6, s14
	s_addc_u32 s7, s7, s15
	s_cmp_lg_u64 s[12:13], 0
	s_cbranch_scc0 .LBB11_113
.LBB11_31:                              ;   Parent Loop BB11_2 Depth=1
                                        ; =>  This Loop Header: Depth=2
                                        ;       Child Loop BB11_34 Depth 3
                                        ;       Child Loop BB11_42 Depth 3
	;; [unrolled: 1-line block ×11, first 2 shown]
	v_cmp_lt_u64_e64 s[0:1], s[12:13], 56
	s_and_b64 s[0:1], s[0:1], exec
	s_cselect_b32 s15, s13, 0
	s_cselect_b32 s14, s12, 56
	v_cmp_gt_u64_e64 s[16:17], s[12:13], 7
	s_add_u32 s0, s6, 8
	s_addc_u32 s1, s7, 0
	s_and_b64 vcc, exec, s[16:17]
	s_cbranch_vccnz .LBB11_35
; %bb.32:                               ;   in Loop: Header=BB11_31 Depth=2
	s_cmp_eq_u64 s[12:13], 0
	s_cbranch_scc1 .LBB11_36
; %bb.33:                               ;   in Loop: Header=BB11_31 Depth=2
	s_lshl_b64 s[0:1], s[14:15], 3
	s_mov_b64 s[16:17], 0
	v_mov_b64_e32 v[18:19], 0
	s_mov_b64 s[18:19], s[6:7]
.LBB11_34:                              ;   Parent Loop BB11_2 Depth=1
                                        ;     Parent Loop BB11_31 Depth=2
                                        ; =>    This Inner Loop Header: Depth=3
	global_load_ubyte v2, v3, s[18:19]
	s_waitcnt vmcnt(0)
	v_and_b32_e32 v2, 0xffff, v2
	v_lshlrev_b64 v[4:5], s16, v[2:3]
	s_add_u32 s16, s16, 8
	s_addc_u32 s17, s17, 0
	s_add_u32 s18, s18, 1
	s_addc_u32 s19, s19, 0
	v_or_b32_e32 v18, v4, v18
	s_cmp_lg_u32 s0, s16
	v_or_b32_e32 v19, v5, v19
	s_cbranch_scc1 .LBB11_34
	s_branch .LBB11_37
.LBB11_35:                              ;   in Loop: Header=BB11_31 Depth=2
	s_mov_b32 s20, 0
	s_branch .LBB11_38
.LBB11_36:                              ;   in Loop: Header=BB11_31 Depth=2
	v_mov_b64_e32 v[18:19], 0
.LBB11_37:                              ;   in Loop: Header=BB11_31 Depth=2
	s_mov_b64 s[0:1], s[6:7]
	s_mov_b32 s20, 0
	s_cbranch_execnz .LBB11_39
.LBB11_38:                              ;   in Loop: Header=BB11_31 Depth=2
	global_load_dwordx2 v[18:19], v3, s[6:7]
	s_add_i32 s20, s14, -8
.LBB11_39:                              ;   in Loop: Header=BB11_31 Depth=2
	s_add_u32 s16, s0, 8
	s_addc_u32 s17, s1, 0
	s_cmp_gt_u32 s20, 7
	s_cbranch_scc1 .LBB11_43
; %bb.40:                               ;   in Loop: Header=BB11_31 Depth=2
	s_cmp_eq_u32 s20, 0
	s_cbranch_scc1 .LBB11_44
; %bb.41:                               ;   in Loop: Header=BB11_31 Depth=2
	s_mov_b64 s[16:17], 0
	v_mov_b64_e32 v[20:21], 0
	s_mov_b64 s[18:19], 0
.LBB11_42:                              ;   Parent Loop BB11_2 Depth=1
                                        ;     Parent Loop BB11_31 Depth=2
                                        ; =>    This Inner Loop Header: Depth=3
	s_add_u32 s22, s0, s18
	s_addc_u32 s23, s1, s19
	global_load_ubyte v2, v3, s[22:23]
	s_add_u32 s18, s18, 1
	s_addc_u32 s19, s19, 0
	s_waitcnt vmcnt(0)
	v_and_b32_e32 v2, 0xffff, v2
	v_lshlrev_b64 v[4:5], s16, v[2:3]
	s_add_u32 s16, s16, 8
	s_addc_u32 s17, s17, 0
	v_or_b32_e32 v20, v4, v20
	s_cmp_lg_u32 s20, s18
	v_or_b32_e32 v21, v5, v21
	s_cbranch_scc1 .LBB11_42
	s_branch .LBB11_45
.LBB11_43:                              ;   in Loop: Header=BB11_31 Depth=2
                                        ; implicit-def: $vgpr20_vgpr21
	s_mov_b32 s21, 0
	s_branch .LBB11_46
.LBB11_44:                              ;   in Loop: Header=BB11_31 Depth=2
	v_mov_b64_e32 v[20:21], 0
.LBB11_45:                              ;   in Loop: Header=BB11_31 Depth=2
	s_mov_b64 s[16:17], s[0:1]
	s_mov_b32 s21, 0
	s_cbranch_execnz .LBB11_47
.LBB11_46:                              ;   in Loop: Header=BB11_31 Depth=2
	global_load_dwordx2 v[20:21], v3, s[0:1]
	s_add_i32 s21, s20, -8
.LBB11_47:                              ;   in Loop: Header=BB11_31 Depth=2
	s_add_u32 s0, s16, 8
	s_addc_u32 s1, s17, 0
	s_cmp_gt_u32 s21, 7
	s_cbranch_scc1 .LBB11_51
; %bb.48:                               ;   in Loop: Header=BB11_31 Depth=2
	s_cmp_eq_u32 s21, 0
	s_cbranch_scc1 .LBB11_52
; %bb.49:                               ;   in Loop: Header=BB11_31 Depth=2
	s_mov_b64 s[0:1], 0
	v_mov_b64_e32 v[22:23], 0
	s_mov_b64 s[18:19], 0
.LBB11_50:                              ;   Parent Loop BB11_2 Depth=1
                                        ;     Parent Loop BB11_31 Depth=2
                                        ; =>    This Inner Loop Header: Depth=3
	s_add_u32 s22, s16, s18
	s_addc_u32 s23, s17, s19
	global_load_ubyte v2, v3, s[22:23]
	s_add_u32 s18, s18, 1
	s_addc_u32 s19, s19, 0
	s_waitcnt vmcnt(0)
	v_and_b32_e32 v2, 0xffff, v2
	v_lshlrev_b64 v[4:5], s0, v[2:3]
	s_add_u32 s0, s0, 8
	s_addc_u32 s1, s1, 0
	v_or_b32_e32 v22, v4, v22
	s_cmp_lg_u32 s21, s18
	v_or_b32_e32 v23, v5, v23
	s_cbranch_scc1 .LBB11_50
	s_branch .LBB11_53
.LBB11_51:                              ;   in Loop: Header=BB11_31 Depth=2
	s_mov_b32 s20, 0
	s_branch .LBB11_54
.LBB11_52:                              ;   in Loop: Header=BB11_31 Depth=2
	v_mov_b64_e32 v[22:23], 0
.LBB11_53:                              ;   in Loop: Header=BB11_31 Depth=2
	s_mov_b64 s[0:1], s[16:17]
	s_mov_b32 s20, 0
	s_cbranch_execnz .LBB11_55
.LBB11_54:                              ;   in Loop: Header=BB11_31 Depth=2
	global_load_dwordx2 v[22:23], v3, s[16:17]
	s_add_i32 s20, s21, -8
.LBB11_55:                              ;   in Loop: Header=BB11_31 Depth=2
	s_add_u32 s16, s0, 8
	s_addc_u32 s17, s1, 0
	s_cmp_gt_u32 s20, 7
	s_cbranch_scc1 .LBB11_59
; %bb.56:                               ;   in Loop: Header=BB11_31 Depth=2
	s_cmp_eq_u32 s20, 0
	s_cbranch_scc1 .LBB11_60
; %bb.57:                               ;   in Loop: Header=BB11_31 Depth=2
	s_mov_b64 s[16:17], 0
	v_mov_b64_e32 v[24:25], 0
	s_mov_b64 s[18:19], 0
.LBB11_58:                              ;   Parent Loop BB11_2 Depth=1
                                        ;     Parent Loop BB11_31 Depth=2
                                        ; =>    This Inner Loop Header: Depth=3
	s_add_u32 s22, s0, s18
	s_addc_u32 s23, s1, s19
	global_load_ubyte v2, v3, s[22:23]
	s_add_u32 s18, s18, 1
	s_addc_u32 s19, s19, 0
	s_waitcnt vmcnt(0)
	v_and_b32_e32 v2, 0xffff, v2
	v_lshlrev_b64 v[4:5], s16, v[2:3]
	s_add_u32 s16, s16, 8
	s_addc_u32 s17, s17, 0
	v_or_b32_e32 v24, v4, v24
	s_cmp_lg_u32 s20, s18
	v_or_b32_e32 v25, v5, v25
	s_cbranch_scc1 .LBB11_58
	s_branch .LBB11_61
.LBB11_59:                              ;   in Loop: Header=BB11_31 Depth=2
                                        ; implicit-def: $vgpr24_vgpr25
	s_mov_b32 s21, 0
	s_branch .LBB11_62
.LBB11_60:                              ;   in Loop: Header=BB11_31 Depth=2
	v_mov_b64_e32 v[24:25], 0
.LBB11_61:                              ;   in Loop: Header=BB11_31 Depth=2
	s_mov_b64 s[16:17], s[0:1]
	s_mov_b32 s21, 0
	s_cbranch_execnz .LBB11_63
.LBB11_62:                              ;   in Loop: Header=BB11_31 Depth=2
	global_load_dwordx2 v[24:25], v3, s[0:1]
	s_add_i32 s21, s20, -8
.LBB11_63:                              ;   in Loop: Header=BB11_31 Depth=2
	s_add_u32 s0, s16, 8
	s_addc_u32 s1, s17, 0
	s_cmp_gt_u32 s21, 7
	s_cbranch_scc1 .LBB11_67
; %bb.64:                               ;   in Loop: Header=BB11_31 Depth=2
	s_cmp_eq_u32 s21, 0
	s_cbranch_scc1 .LBB11_68
; %bb.65:                               ;   in Loop: Header=BB11_31 Depth=2
	s_mov_b64 s[0:1], 0
	v_mov_b64_e32 v[26:27], 0
	s_mov_b64 s[18:19], 0
.LBB11_66:                              ;   Parent Loop BB11_2 Depth=1
                                        ;     Parent Loop BB11_31 Depth=2
                                        ; =>    This Inner Loop Header: Depth=3
	s_add_u32 s22, s16, s18
	s_addc_u32 s23, s17, s19
	global_load_ubyte v2, v3, s[22:23]
	s_add_u32 s18, s18, 1
	s_addc_u32 s19, s19, 0
	s_waitcnt vmcnt(0)
	v_and_b32_e32 v2, 0xffff, v2
	v_lshlrev_b64 v[4:5], s0, v[2:3]
	s_add_u32 s0, s0, 8
	s_addc_u32 s1, s1, 0
	v_or_b32_e32 v26, v4, v26
	s_cmp_lg_u32 s21, s18
	v_or_b32_e32 v27, v5, v27
	s_cbranch_scc1 .LBB11_66
	s_branch .LBB11_69
.LBB11_67:                              ;   in Loop: Header=BB11_31 Depth=2
	s_mov_b32 s20, 0
	s_branch .LBB11_70
.LBB11_68:                              ;   in Loop: Header=BB11_31 Depth=2
	v_mov_b64_e32 v[26:27], 0
.LBB11_69:                              ;   in Loop: Header=BB11_31 Depth=2
	s_mov_b64 s[0:1], s[16:17]
	s_mov_b32 s20, 0
	s_cbranch_execnz .LBB11_71
.LBB11_70:                              ;   in Loop: Header=BB11_31 Depth=2
	global_load_dwordx2 v[26:27], v3, s[16:17]
	s_add_i32 s20, s21, -8
.LBB11_71:                              ;   in Loop: Header=BB11_31 Depth=2
	s_add_u32 s16, s0, 8
	s_addc_u32 s17, s1, 0
	s_cmp_gt_u32 s20, 7
	s_cbranch_scc1 .LBB11_75
; %bb.72:                               ;   in Loop: Header=BB11_31 Depth=2
	s_cmp_eq_u32 s20, 0
	s_cbranch_scc1 .LBB11_76
; %bb.73:                               ;   in Loop: Header=BB11_31 Depth=2
	s_mov_b64 s[16:17], 0
	v_mov_b64_e32 v[28:29], 0
	s_mov_b64 s[18:19], 0
.LBB11_74:                              ;   Parent Loop BB11_2 Depth=1
                                        ;     Parent Loop BB11_31 Depth=2
                                        ; =>    This Inner Loop Header: Depth=3
	s_add_u32 s22, s0, s18
	s_addc_u32 s23, s1, s19
	global_load_ubyte v2, v3, s[22:23]
	s_add_u32 s18, s18, 1
	s_addc_u32 s19, s19, 0
	s_waitcnt vmcnt(0)
	v_and_b32_e32 v2, 0xffff, v2
	v_lshlrev_b64 v[4:5], s16, v[2:3]
	s_add_u32 s16, s16, 8
	s_addc_u32 s17, s17, 0
	v_or_b32_e32 v28, v4, v28
	s_cmp_lg_u32 s20, s18
	v_or_b32_e32 v29, v5, v29
	s_cbranch_scc1 .LBB11_74
	s_branch .LBB11_77
.LBB11_75:                              ;   in Loop: Header=BB11_31 Depth=2
                                        ; implicit-def: $vgpr28_vgpr29
	s_mov_b32 s21, 0
	s_branch .LBB11_78
.LBB11_76:                              ;   in Loop: Header=BB11_31 Depth=2
	v_mov_b64_e32 v[28:29], 0
.LBB11_77:                              ;   in Loop: Header=BB11_31 Depth=2
	s_mov_b64 s[16:17], s[0:1]
	s_mov_b32 s21, 0
	s_cbranch_execnz .LBB11_79
.LBB11_78:                              ;   in Loop: Header=BB11_31 Depth=2
	global_load_dwordx2 v[28:29], v3, s[0:1]
	s_add_i32 s21, s20, -8
.LBB11_79:                              ;   in Loop: Header=BB11_31 Depth=2
	s_cmp_gt_u32 s21, 7
	s_cbranch_scc1 .LBB11_83
; %bb.80:                               ;   in Loop: Header=BB11_31 Depth=2
	s_cmp_eq_u32 s21, 0
	s_cbranch_scc1 .LBB11_84
; %bb.81:                               ;   in Loop: Header=BB11_31 Depth=2
	s_mov_b64 s[0:1], 0
	v_mov_b64_e32 v[30:31], 0
	s_mov_b64 s[18:19], s[16:17]
.LBB11_82:                              ;   Parent Loop BB11_2 Depth=1
                                        ;     Parent Loop BB11_31 Depth=2
                                        ; =>    This Inner Loop Header: Depth=3
	global_load_ubyte v2, v3, s[18:19]
	s_add_i32 s21, s21, -1
	s_waitcnt vmcnt(0)
	v_and_b32_e32 v2, 0xffff, v2
	v_lshlrev_b64 v[4:5], s0, v[2:3]
	s_add_u32 s0, s0, 8
	s_addc_u32 s1, s1, 0
	s_add_u32 s18, s18, 1
	s_addc_u32 s19, s19, 0
	v_or_b32_e32 v30, v4, v30
	s_cmp_lg_u32 s21, 0
	v_or_b32_e32 v31, v5, v31
	s_cbranch_scc1 .LBB11_82
	s_branch .LBB11_85
.LBB11_83:                              ;   in Loop: Header=BB11_31 Depth=2
	s_branch .LBB11_86
.LBB11_84:                              ;   in Loop: Header=BB11_31 Depth=2
	v_mov_b64_e32 v[30:31], 0
.LBB11_85:                              ;   in Loop: Header=BB11_31 Depth=2
	s_cbranch_execnz .LBB11_87
.LBB11_86:                              ;   in Loop: Header=BB11_31 Depth=2
	global_load_dwordx2 v[30:31], v3, s[16:17]
.LBB11_87:                              ;   in Loop: Header=BB11_31 Depth=2
	v_readfirstlane_b32 s0, v36
	v_mov_b64_e32 v[4:5], 0
	s_nop 0
	v_cmp_eq_u32_e64 s[0:1], s0, v36
	s_and_saveexec_b64 s[16:17], s[0:1]
	s_cbranch_execz .LBB11_93
; %bb.88:                               ;   in Loop: Header=BB11_31 Depth=2
	global_load_dwordx2 v[34:35], v3, s[8:9] offset:24 sc0 sc1
	s_waitcnt vmcnt(0)
	buffer_inv sc0 sc1
	global_load_dwordx2 v[4:5], v3, s[8:9] offset:40
	global_load_dwordx2 v[32:33], v3, s[8:9]
	s_waitcnt vmcnt(1)
	v_and_b32_e32 v2, v4, v34
	v_and_b32_e32 v4, v5, v35
	v_mul_lo_u32 v4, v4, 24
	v_mul_hi_u32 v5, v2, 24
	v_add_u32_e32 v5, v5, v4
	v_mul_lo_u32 v4, v2, 24
	s_waitcnt vmcnt(0)
	v_lshl_add_u64 v[4:5], v[32:33], 0, v[4:5]
	global_load_dwordx2 v[32:33], v[4:5], off sc0 sc1
	s_waitcnt vmcnt(0)
	global_atomic_cmpswap_x2 v[4:5], v3, v[32:35], s[8:9] offset:24 sc0 sc1
	s_waitcnt vmcnt(0)
	buffer_inv sc0 sc1
	v_cmp_ne_u64_e32 vcc, v[4:5], v[34:35]
	s_and_saveexec_b64 s[18:19], vcc
	s_cbranch_execz .LBB11_92
; %bb.89:                               ;   in Loop: Header=BB11_31 Depth=2
	s_mov_b64 s[20:21], 0
.LBB11_90:                              ;   Parent Loop BB11_2 Depth=1
                                        ;     Parent Loop BB11_31 Depth=2
                                        ; =>    This Inner Loop Header: Depth=3
	s_sleep 1
	global_load_dwordx2 v[32:33], v3, s[8:9] offset:40
	global_load_dwordx2 v[42:43], v3, s[8:9]
	v_mov_b64_e32 v[34:35], v[4:5]
	s_waitcnt vmcnt(1)
	v_and_b32_e32 v2, v32, v34
	s_waitcnt vmcnt(0)
	v_mad_u64_u32 v[4:5], s[22:23], v2, 24, v[42:43]
	v_and_b32_e32 v33, v33, v35
	v_mov_b32_e32 v2, v5
	v_mad_u64_u32 v[32:33], s[22:23], v33, 24, v[2:3]
	v_mov_b32_e32 v5, v32
	global_load_dwordx2 v[32:33], v[4:5], off sc0 sc1
	s_waitcnt vmcnt(0)
	global_atomic_cmpswap_x2 v[4:5], v3, v[32:35], s[8:9] offset:24 sc0 sc1
	s_waitcnt vmcnt(0)
	buffer_inv sc0 sc1
	v_cmp_eq_u64_e32 vcc, v[4:5], v[34:35]
	s_or_b64 s[20:21], vcc, s[20:21]
	s_andn2_b64 exec, exec, s[20:21]
	s_cbranch_execnz .LBB11_90
; %bb.91:                               ;   in Loop: Header=BB11_31 Depth=2
	s_or_b64 exec, exec, s[20:21]
.LBB11_92:                              ;   in Loop: Header=BB11_31 Depth=2
	s_or_b64 exec, exec, s[18:19]
.LBB11_93:                              ;   in Loop: Header=BB11_31 Depth=2
	s_or_b64 exec, exec, s[16:17]
	global_load_dwordx2 v[42:43], v3, s[8:9] offset:40
	global_load_dwordx4 v[32:35], v3, s[8:9]
	v_readfirstlane_b32 s17, v5
	v_readfirstlane_b32 s16, v4
	s_mov_b64 s[18:19], exec
	s_waitcnt vmcnt(1)
	v_readfirstlane_b32 s20, v42
	v_readfirstlane_b32 s21, v43
	s_and_b64 s[20:21], s[20:21], s[16:17]
	s_mul_i32 s22, s21, 24
	s_mul_hi_u32 s23, s20, 24
	s_add_i32 s23, s23, s22
	s_mul_i32 s22, s20, 24
	s_waitcnt vmcnt(0)
	v_lshl_add_u64 v[42:43], v[32:33], 0, s[22:23]
	s_and_saveexec_b64 s[22:23], s[0:1]
	s_cbranch_execz .LBB11_95
; %bb.94:                               ;   in Loop: Header=BB11_31 Depth=2
	v_mov_b64_e32 v[4:5], s[18:19]
	global_store_dwordx4 v[42:43], v[4:7], off offset:8
.LBB11_95:                              ;   in Loop: Header=BB11_31 Depth=2
	s_or_b64 exec, exec, s[22:23]
	s_lshl_b64 s[18:19], s[20:21], 12
	v_lshl_add_u64 v[4:5], v[34:35], 0, s[18:19]
	v_cmp_lt_u64_e64 vcc, s[12:13], 57
	s_lshl_b32 s18, s14, 2
	s_add_i32 s18, s18, 28
	v_cndmask_b32_e32 v2, 0, v40, vcc
	v_and_b32_e32 v16, 0xffffff1f, v16
	s_and_b32 s18, s18, 0x1e0
	v_or_b32_e32 v2, v16, v2
	v_or_b32_e32 v16, s18, v2
	v_readfirstlane_b32 s18, v4
	v_readfirstlane_b32 s19, v5
	s_nop 4
	global_store_dwordx4 v38, v[16:19], s[18:19]
	global_store_dwordx4 v38, v[20:23], s[18:19] offset:16
	global_store_dwordx4 v38, v[24:27], s[18:19] offset:32
	global_store_dwordx4 v38, v[28:31], s[18:19] offset:48
	s_and_saveexec_b64 s[18:19], s[0:1]
	s_cbranch_execz .LBB11_103
; %bb.96:                               ;   in Loop: Header=BB11_31 Depth=2
	global_load_dwordx2 v[24:25], v3, s[8:9] offset:32 sc0 sc1
	global_load_dwordx2 v[16:17], v3, s[8:9] offset:40
	v_mov_b32_e32 v22, s16
	v_mov_b32_e32 v23, s17
	s_waitcnt vmcnt(0)
	v_readfirstlane_b32 s20, v16
	v_readfirstlane_b32 s21, v17
	s_and_b64 s[20:21], s[20:21], s[16:17]
	s_mul_i32 s21, s21, 24
	s_mul_hi_u32 s22, s20, 24
	s_mul_i32 s20, s20, 24
	s_add_i32 s21, s22, s21
	v_lshl_add_u64 v[20:21], v[32:33], 0, s[20:21]
	global_store_dwordx2 v[20:21], v[24:25], off
	buffer_wbl2 sc0 sc1
	s_waitcnt vmcnt(0)
	global_atomic_cmpswap_x2 v[18:19], v3, v[22:25], s[8:9] offset:32 sc0 sc1
	s_waitcnt vmcnt(0)
	v_cmp_ne_u64_e32 vcc, v[18:19], v[24:25]
	s_and_saveexec_b64 s[20:21], vcc
	s_cbranch_execz .LBB11_99
; %bb.97:                               ;   in Loop: Header=BB11_31 Depth=2
	s_mov_b64 s[22:23], 0
.LBB11_98:                              ;   Parent Loop BB11_2 Depth=1
                                        ;     Parent Loop BB11_31 Depth=2
                                        ; =>    This Inner Loop Header: Depth=3
	s_sleep 1
	global_store_dwordx2 v[20:21], v[18:19], off
	v_mov_b32_e32 v16, s16
	v_mov_b32_e32 v17, s17
	buffer_wbl2 sc0 sc1
	s_waitcnt vmcnt(0)
	global_atomic_cmpswap_x2 v[16:17], v3, v[16:19], s[8:9] offset:32 sc0 sc1
	s_waitcnt vmcnt(0)
	v_cmp_eq_u64_e32 vcc, v[16:17], v[18:19]
	s_or_b64 s[22:23], vcc, s[22:23]
	v_mov_b64_e32 v[18:19], v[16:17]
	s_andn2_b64 exec, exec, s[22:23]
	s_cbranch_execnz .LBB11_98
.LBB11_99:                              ;   in Loop: Header=BB11_31 Depth=2
	s_or_b64 exec, exec, s[20:21]
	global_load_dwordx2 v[16:17], v3, s[8:9] offset:16
	s_mov_b64 s[22:23], exec
	v_mbcnt_lo_u32_b32 v2, s22, 0
	v_mbcnt_hi_u32_b32 v2, s23, v2
	v_cmp_eq_u32_e32 vcc, 0, v2
	s_and_saveexec_b64 s[20:21], vcc
	s_cbranch_execz .LBB11_101
; %bb.100:                              ;   in Loop: Header=BB11_31 Depth=2
	s_bcnt1_i32_b64 s22, s[22:23]
	v_mov_b32_e32 v2, s22
	buffer_wbl2 sc0 sc1
	s_waitcnt vmcnt(0)
	global_atomic_add_x2 v[16:17], v[2:3], off offset:8 sc1
.LBB11_101:                             ;   in Loop: Header=BB11_31 Depth=2
	s_or_b64 exec, exec, s[20:21]
	s_waitcnt vmcnt(0)
	global_load_dwordx2 v[18:19], v[16:17], off offset:16
	s_waitcnt vmcnt(0)
	v_cmp_eq_u64_e32 vcc, 0, v[18:19]
	s_cbranch_vccnz .LBB11_103
; %bb.102:                              ;   in Loop: Header=BB11_31 Depth=2
	global_load_dword v2, v[16:17], off offset:24
	s_waitcnt vmcnt(0)
	v_readfirstlane_b32 s20, v2
	s_and_b32 m0, s20, 0xffffff
	buffer_wbl2 sc0 sc1
	global_store_dwordx2 v[18:19], v[2:3], off sc0 sc1
	s_sendmsg sendmsg(MSG_INTERRUPT)
.LBB11_103:                             ;   in Loop: Header=BB11_31 Depth=2
	s_or_b64 exec, exec, s[18:19]
	v_mov_b32_e32 v39, v3
	v_lshl_add_u64 v[4:5], v[4:5], 0, v[38:39]
	s_branch .LBB11_107
.LBB11_104:                             ;   in Loop: Header=BB11_107 Depth=3
	s_or_b64 exec, exec, s[18:19]
	v_readfirstlane_b32 s18, v2
	s_cmp_eq_u32 s18, 0
	s_cbranch_scc1 .LBB11_106
; %bb.105:                              ;   in Loop: Header=BB11_107 Depth=3
	s_sleep 1
	s_cbranch_execnz .LBB11_107
	s_branch .LBB11_109
.LBB11_106:                             ;   in Loop: Header=BB11_31 Depth=2
	s_branch .LBB11_109
.LBB11_107:                             ;   Parent Loop BB11_2 Depth=1
                                        ;     Parent Loop BB11_31 Depth=2
                                        ; =>    This Inner Loop Header: Depth=3
	v_mov_b32_e32 v2, 1
	s_and_saveexec_b64 s[18:19], s[0:1]
	s_cbranch_execz .LBB11_104
; %bb.108:                              ;   in Loop: Header=BB11_107 Depth=3
	global_load_dword v2, v[42:43], off offset:20 sc0 sc1
	s_waitcnt vmcnt(0)
	buffer_inv sc0 sc1
	v_and_b32_e32 v2, 1, v2
	s_branch .LBB11_104
.LBB11_109:                             ;   in Loop: Header=BB11_31 Depth=2
	global_load_dwordx2 v[16:17], v[4:5], off
	s_and_saveexec_b64 s[18:19], s[0:1]
	s_cbranch_execz .LBB11_30
; %bb.110:                              ;   in Loop: Header=BB11_31 Depth=2
	global_load_dwordx2 v[4:5], v3, s[8:9] offset:40
	global_load_dwordx2 v[22:23], v3, s[8:9] offset:24 sc0 sc1
	global_load_dwordx2 v[18:19], v3, s[8:9]
	s_waitcnt vmcnt(2)
	v_readfirstlane_b32 s20, v4
	v_readfirstlane_b32 s21, v5
	s_add_u32 s22, s20, 1
	s_addc_u32 s23, s21, 0
	s_add_u32 s0, s22, s16
	s_addc_u32 s1, s23, s17
	s_cmp_eq_u64 s[0:1], 0
	s_cselect_b32 s1, s23, s1
	s_cselect_b32 s0, s22, s0
	s_and_b64 s[16:17], s[0:1], s[20:21]
	s_mul_i32 s17, s17, 24
	s_mul_hi_u32 s20, s16, 24
	s_mul_i32 s16, s16, 24
	s_add_i32 s17, s20, s17
	s_waitcnt vmcnt(0)
	v_lshl_add_u64 v[4:5], v[18:19], 0, s[16:17]
	v_mov_b32_e32 v20, s0
	global_store_dwordx2 v[4:5], v[22:23], off
	v_mov_b32_e32 v21, s1
	buffer_wbl2 sc0 sc1
	s_waitcnt vmcnt(0)
	global_atomic_cmpswap_x2 v[20:21], v3, v[20:23], s[8:9] offset:24 sc0 sc1
	s_waitcnt vmcnt(0)
	v_cmp_ne_u64_e32 vcc, v[20:21], v[22:23]
	s_and_b64 exec, exec, vcc
	s_cbranch_execz .LBB11_30
; %bb.111:                              ;   in Loop: Header=BB11_31 Depth=2
	s_mov_b64 s[16:17], 0
.LBB11_112:                             ;   Parent Loop BB11_2 Depth=1
                                        ;     Parent Loop BB11_31 Depth=2
                                        ; =>    This Inner Loop Header: Depth=3
	s_sleep 1
	global_store_dwordx2 v[4:5], v[20:21], off
	v_mov_b32_e32 v18, s0
	v_mov_b32_e32 v19, s1
	buffer_wbl2 sc0 sc1
	s_waitcnt vmcnt(0)
	global_atomic_cmpswap_x2 v[18:19], v3, v[18:21], s[8:9] offset:24 sc0 sc1
	s_waitcnt vmcnt(0)
	v_cmp_eq_u64_e32 vcc, v[18:19], v[20:21]
	s_or_b64 s[16:17], vcc, s[16:17]
	v_mov_b64_e32 v[20:21], v[18:19]
	s_andn2_b64 exec, exec, s[16:17]
	s_cbranch_execnz .LBB11_112
	s_branch .LBB11_30
.LBB11_113:                             ;   in Loop: Header=BB11_2 Depth=1
	s_branch .LBB11_142
.LBB11_114:                             ;   in Loop: Header=BB11_2 Depth=1
                                        ; implicit-def: $vgpr16_vgpr17
	s_cbranch_execz .LBB11_142
; %bb.115:                              ;   in Loop: Header=BB11_2 Depth=1
	v_readfirstlane_b32 s0, v36
	v_mov_b64_e32 v[4:5], 0
	s_nop 0
	v_cmp_eq_u32_e64 s[0:1], s0, v36
	s_and_saveexec_b64 s[6:7], s[0:1]
	s_cbranch_execz .LBB11_121
; %bb.116:                              ;   in Loop: Header=BB11_2 Depth=1
	global_load_dwordx2 v[18:19], v3, s[8:9] offset:24 sc0 sc1
	s_waitcnt vmcnt(0)
	buffer_inv sc0 sc1
	global_load_dwordx2 v[4:5], v3, s[8:9] offset:40
	global_load_dwordx2 v[16:17], v3, s[8:9]
	s_waitcnt vmcnt(1)
	v_and_b32_e32 v2, v4, v18
	v_and_b32_e32 v4, v5, v19
	v_mul_lo_u32 v4, v4, 24
	v_mul_hi_u32 v5, v2, 24
	v_add_u32_e32 v5, v5, v4
	v_mul_lo_u32 v4, v2, 24
	s_waitcnt vmcnt(0)
	v_lshl_add_u64 v[4:5], v[16:17], 0, v[4:5]
	global_load_dwordx2 v[16:17], v[4:5], off sc0 sc1
	s_waitcnt vmcnt(0)
	global_atomic_cmpswap_x2 v[4:5], v3, v[16:19], s[8:9] offset:24 sc0 sc1
	s_waitcnt vmcnt(0)
	buffer_inv sc0 sc1
	v_cmp_ne_u64_e32 vcc, v[4:5], v[18:19]
	s_and_saveexec_b64 s[12:13], vcc
	s_cbranch_execz .LBB11_120
; %bb.117:                              ;   in Loop: Header=BB11_2 Depth=1
	s_mov_b64 s[14:15], 0
.LBB11_118:                             ;   Parent Loop BB11_2 Depth=1
                                        ; =>  This Inner Loop Header: Depth=2
	s_sleep 1
	global_load_dwordx2 v[16:17], v3, s[8:9] offset:40
	global_load_dwordx2 v[20:21], v3, s[8:9]
	v_mov_b64_e32 v[18:19], v[4:5]
	s_waitcnt vmcnt(1)
	v_and_b32_e32 v2, v16, v18
	s_waitcnt vmcnt(0)
	v_mad_u64_u32 v[4:5], s[16:17], v2, 24, v[20:21]
	v_and_b32_e32 v17, v17, v19
	v_mov_b32_e32 v2, v5
	v_mad_u64_u32 v[16:17], s[16:17], v17, 24, v[2:3]
	v_mov_b32_e32 v5, v16
	global_load_dwordx2 v[16:17], v[4:5], off sc0 sc1
	s_waitcnt vmcnt(0)
	global_atomic_cmpswap_x2 v[4:5], v3, v[16:19], s[8:9] offset:24 sc0 sc1
	s_waitcnt vmcnt(0)
	buffer_inv sc0 sc1
	v_cmp_eq_u64_e32 vcc, v[4:5], v[18:19]
	s_or_b64 s[14:15], vcc, s[14:15]
	s_andn2_b64 exec, exec, s[14:15]
	s_cbranch_execnz .LBB11_118
; %bb.119:                              ;   in Loop: Header=BB11_2 Depth=1
	s_or_b64 exec, exec, s[14:15]
.LBB11_120:                             ;   in Loop: Header=BB11_2 Depth=1
	s_or_b64 exec, exec, s[12:13]
.LBB11_121:                             ;   in Loop: Header=BB11_2 Depth=1
	s_or_b64 exec, exec, s[6:7]
	global_load_dwordx2 v[20:21], v3, s[8:9] offset:40
	global_load_dwordx4 v[16:19], v3, s[8:9]
	v_readfirstlane_b32 s7, v5
	v_readfirstlane_b32 s6, v4
	s_mov_b64 s[12:13], exec
	s_waitcnt vmcnt(1)
	v_readfirstlane_b32 s14, v20
	v_readfirstlane_b32 s15, v21
	s_and_b64 s[14:15], s[14:15], s[6:7]
	s_mul_i32 s16, s15, 24
	s_mul_hi_u32 s17, s14, 24
	s_add_i32 s17, s17, s16
	s_mul_i32 s16, s14, 24
	s_waitcnt vmcnt(0)
	v_lshl_add_u64 v[20:21], v[16:17], 0, s[16:17]
	s_and_saveexec_b64 s[16:17], s[0:1]
	s_cbranch_execz .LBB11_123
; %bb.122:                              ;   in Loop: Header=BB11_2 Depth=1
	v_mov_b64_e32 v[4:5], s[12:13]
	global_store_dwordx4 v[20:21], v[4:7], off offset:8
.LBB11_123:                             ;   in Loop: Header=BB11_2 Depth=1
	s_or_b64 exec, exec, s[16:17]
	s_lshl_b64 s[12:13], s[14:15], 12
	v_lshl_add_u64 v[4:5], v[18:19], 0, s[12:13]
	v_and_or_b32 v0, v0, s5, 32
	v_mov_b32_e32 v2, v3
	v_readfirstlane_b32 s12, v4
	v_readfirstlane_b32 s13, v5
	s_nop 4
	global_store_dwordx4 v38, v[0:3], s[12:13]
	global_store_dwordx4 v38, v[44:47], s[12:13] offset:16
	global_store_dwordx4 v38, v[44:47], s[12:13] offset:32
	;; [unrolled: 1-line block ×3, first 2 shown]
	s_and_saveexec_b64 s[12:13], s[0:1]
	s_cbranch_execz .LBB11_131
; %bb.124:                              ;   in Loop: Header=BB11_2 Depth=1
	global_load_dwordx2 v[24:25], v3, s[8:9] offset:32 sc0 sc1
	global_load_dwordx2 v[0:1], v3, s[8:9] offset:40
	v_mov_b32_e32 v22, s6
	v_mov_b32_e32 v23, s7
	s_waitcnt vmcnt(0)
	v_readfirstlane_b32 s14, v0
	v_readfirstlane_b32 s15, v1
	s_and_b64 s[14:15], s[14:15], s[6:7]
	s_mul_i32 s15, s15, 24
	s_mul_hi_u32 s16, s14, 24
	s_mul_i32 s14, s14, 24
	s_add_i32 s15, s16, s15
	v_lshl_add_u64 v[0:1], v[16:17], 0, s[14:15]
	global_store_dwordx2 v[0:1], v[24:25], off
	buffer_wbl2 sc0 sc1
	s_waitcnt vmcnt(0)
	global_atomic_cmpswap_x2 v[18:19], v3, v[22:25], s[8:9] offset:32 sc0 sc1
	s_waitcnt vmcnt(0)
	v_cmp_ne_u64_e32 vcc, v[18:19], v[24:25]
	s_and_saveexec_b64 s[14:15], vcc
	s_cbranch_execz .LBB11_127
; %bb.125:                              ;   in Loop: Header=BB11_2 Depth=1
	s_mov_b64 s[16:17], 0
.LBB11_126:                             ;   Parent Loop BB11_2 Depth=1
                                        ; =>  This Inner Loop Header: Depth=2
	s_sleep 1
	global_store_dwordx2 v[0:1], v[18:19], off
	v_mov_b32_e32 v16, s6
	v_mov_b32_e32 v17, s7
	buffer_wbl2 sc0 sc1
	s_waitcnt vmcnt(0)
	global_atomic_cmpswap_x2 v[16:17], v3, v[16:19], s[8:9] offset:32 sc0 sc1
	s_waitcnt vmcnt(0)
	v_cmp_eq_u64_e32 vcc, v[16:17], v[18:19]
	s_or_b64 s[16:17], vcc, s[16:17]
	v_mov_b64_e32 v[18:19], v[16:17]
	s_andn2_b64 exec, exec, s[16:17]
	s_cbranch_execnz .LBB11_126
.LBB11_127:                             ;   in Loop: Header=BB11_2 Depth=1
	s_or_b64 exec, exec, s[14:15]
	global_load_dwordx2 v[0:1], v3, s[8:9] offset:16
	s_mov_b64 s[16:17], exec
	v_mbcnt_lo_u32_b32 v2, s16, 0
	v_mbcnt_hi_u32_b32 v2, s17, v2
	v_cmp_eq_u32_e32 vcc, 0, v2
	s_and_saveexec_b64 s[14:15], vcc
	s_cbranch_execz .LBB11_129
; %bb.128:                              ;   in Loop: Header=BB11_2 Depth=1
	s_bcnt1_i32_b64 s16, s[16:17]
	v_mov_b32_e32 v2, s16
	buffer_wbl2 sc0 sc1
	s_waitcnt vmcnt(0)
	global_atomic_add_x2 v[0:1], v[2:3], off offset:8 sc1
.LBB11_129:                             ;   in Loop: Header=BB11_2 Depth=1
	s_or_b64 exec, exec, s[14:15]
	s_waitcnt vmcnt(0)
	global_load_dwordx2 v[16:17], v[0:1], off offset:16
	s_waitcnt vmcnt(0)
	v_cmp_eq_u64_e32 vcc, 0, v[16:17]
	s_cbranch_vccnz .LBB11_131
; %bb.130:                              ;   in Loop: Header=BB11_2 Depth=1
	global_load_dword v2, v[0:1], off offset:24
	s_waitcnt vmcnt(0)
	v_readfirstlane_b32 s14, v2
	s_and_b32 m0, s14, 0xffffff
	buffer_wbl2 sc0 sc1
	global_store_dwordx2 v[16:17], v[2:3], off sc0 sc1
	s_sendmsg sendmsg(MSG_INTERRUPT)
.LBB11_131:                             ;   in Loop: Header=BB11_2 Depth=1
	s_or_b64 exec, exec, s[12:13]
	v_mov_b32_e32 v39, v3
	v_lshl_add_u64 v[0:1], v[4:5], 0, v[38:39]
	s_branch .LBB11_135
.LBB11_132:                             ;   in Loop: Header=BB11_135 Depth=2
	s_or_b64 exec, exec, s[12:13]
	v_readfirstlane_b32 s12, v2
	s_cmp_eq_u32 s12, 0
	s_cbranch_scc1 .LBB11_134
; %bb.133:                              ;   in Loop: Header=BB11_135 Depth=2
	s_sleep 1
	s_cbranch_execnz .LBB11_135
	s_branch .LBB11_137
.LBB11_134:                             ;   in Loop: Header=BB11_2 Depth=1
	s_branch .LBB11_137
.LBB11_135:                             ;   Parent Loop BB11_2 Depth=1
                                        ; =>  This Inner Loop Header: Depth=2
	v_mov_b32_e32 v2, 1
	s_and_saveexec_b64 s[12:13], s[0:1]
	s_cbranch_execz .LBB11_132
; %bb.136:                              ;   in Loop: Header=BB11_135 Depth=2
	global_load_dword v2, v[20:21], off offset:20 sc0 sc1
	s_waitcnt vmcnt(0)
	buffer_inv sc0 sc1
	v_and_b32_e32 v2, 1, v2
	s_branch .LBB11_132
.LBB11_137:                             ;   in Loop: Header=BB11_2 Depth=1
	global_load_dwordx2 v[16:17], v[0:1], off
	s_and_saveexec_b64 s[12:13], s[0:1]
	s_cbranch_execz .LBB11_141
; %bb.138:                              ;   in Loop: Header=BB11_2 Depth=1
	global_load_dwordx2 v[0:1], v3, s[8:9] offset:40
	global_load_dwordx2 v[22:23], v3, s[8:9] offset:24 sc0 sc1
	global_load_dwordx2 v[4:5], v3, s[8:9]
	s_waitcnt vmcnt(2)
	v_readfirstlane_b32 s14, v0
	v_readfirstlane_b32 s15, v1
	s_add_u32 s16, s14, 1
	s_addc_u32 s17, s15, 0
	s_add_u32 s0, s16, s6
	s_addc_u32 s1, s17, s7
	s_cmp_eq_u64 s[0:1], 0
	s_cselect_b32 s1, s17, s1
	s_cselect_b32 s0, s16, s0
	s_and_b64 s[6:7], s[0:1], s[14:15]
	s_mul_i32 s7, s7, 24
	s_mul_hi_u32 s14, s6, 24
	s_mul_i32 s6, s6, 24
	s_add_i32 s7, s14, s7
	s_waitcnt vmcnt(0)
	v_lshl_add_u64 v[0:1], v[4:5], 0, s[6:7]
	v_mov_b32_e32 v20, s0
	global_store_dwordx2 v[0:1], v[22:23], off
	v_mov_b32_e32 v21, s1
	buffer_wbl2 sc0 sc1
	s_waitcnt vmcnt(0)
	global_atomic_cmpswap_x2 v[20:21], v3, v[20:23], s[8:9] offset:24 sc0 sc1
	s_waitcnt vmcnt(0)
	v_cmp_ne_u64_e32 vcc, v[20:21], v[22:23]
	s_and_b64 exec, exec, vcc
	s_cbranch_execz .LBB11_141
; %bb.139:                              ;   in Loop: Header=BB11_2 Depth=1
	s_mov_b64 s[6:7], 0
.LBB11_140:                             ;   Parent Loop BB11_2 Depth=1
                                        ; =>  This Inner Loop Header: Depth=2
	s_sleep 1
	global_store_dwordx2 v[0:1], v[20:21], off
	v_mov_b32_e32 v18, s0
	v_mov_b32_e32 v19, s1
	buffer_wbl2 sc0 sc1
	s_waitcnt vmcnt(0)
	global_atomic_cmpswap_x2 v[4:5], v3, v[18:21], s[8:9] offset:24 sc0 sc1
	s_waitcnt vmcnt(0)
	v_cmp_eq_u64_e32 vcc, v[4:5], v[20:21]
	s_or_b64 s[6:7], vcc, s[6:7]
	v_mov_b64_e32 v[20:21], v[4:5]
	s_andn2_b64 exec, exec, s[6:7]
	s_cbranch_execnz .LBB11_140
.LBB11_141:                             ;   in Loop: Header=BB11_2 Depth=1
	s_or_b64 exec, exec, s[12:13]
.LBB11_142:                             ;   in Loop: Header=BB11_2 Depth=1
	v_readfirstlane_b32 s0, v36
	s_waitcnt vmcnt(0)
	v_mov_b64_e32 v[0:1], 0
	v_cmp_eq_u32_e64 s[0:1], s0, v36
	s_and_saveexec_b64 s[6:7], s[0:1]
	s_cbranch_execz .LBB11_148
; %bb.143:                              ;   in Loop: Header=BB11_2 Depth=1
	global_load_dwordx2 v[20:21], v3, s[8:9] offset:24 sc0 sc1
	s_waitcnt vmcnt(0)
	buffer_inv sc0 sc1
	global_load_dwordx2 v[0:1], v3, s[8:9] offset:40
	global_load_dwordx2 v[4:5], v3, s[8:9]
	s_waitcnt vmcnt(1)
	v_and_b32_e32 v0, v0, v20
	v_and_b32_e32 v1, v1, v21
	v_mul_lo_u32 v1, v1, 24
	v_mul_hi_u32 v2, v0, 24
	v_add_u32_e32 v1, v2, v1
	v_mul_lo_u32 v0, v0, 24
	s_waitcnt vmcnt(0)
	v_lshl_add_u64 v[0:1], v[4:5], 0, v[0:1]
	global_load_dwordx2 v[18:19], v[0:1], off sc0 sc1
	s_waitcnt vmcnt(0)
	global_atomic_cmpswap_x2 v[0:1], v3, v[18:21], s[8:9] offset:24 sc0 sc1
	s_waitcnt vmcnt(0)
	buffer_inv sc0 sc1
	v_cmp_ne_u64_e32 vcc, v[0:1], v[20:21]
	s_and_saveexec_b64 s[12:13], vcc
	s_cbranch_execz .LBB11_147
; %bb.144:                              ;   in Loop: Header=BB11_2 Depth=1
	s_mov_b64 s[14:15], 0
.LBB11_145:                             ;   Parent Loop BB11_2 Depth=1
                                        ; =>  This Inner Loop Header: Depth=2
	s_sleep 1
	global_load_dwordx2 v[4:5], v3, s[8:9] offset:40
	global_load_dwordx2 v[18:19], v3, s[8:9]
	v_mov_b64_e32 v[20:21], v[0:1]
	s_waitcnt vmcnt(1)
	v_and_b32_e32 v0, v4, v20
	s_waitcnt vmcnt(0)
	v_mad_u64_u32 v[0:1], s[16:17], v0, 24, v[18:19]
	v_and_b32_e32 v5, v5, v21
	v_mov_b32_e32 v2, v1
	v_mad_u64_u32 v[4:5], s[16:17], v5, 24, v[2:3]
	v_mov_b32_e32 v1, v4
	global_load_dwordx2 v[18:19], v[0:1], off sc0 sc1
	s_waitcnt vmcnt(0)
	global_atomic_cmpswap_x2 v[0:1], v3, v[18:21], s[8:9] offset:24 sc0 sc1
	s_waitcnt vmcnt(0)
	buffer_inv sc0 sc1
	v_cmp_eq_u64_e32 vcc, v[0:1], v[20:21]
	s_or_b64 s[14:15], vcc, s[14:15]
	s_andn2_b64 exec, exec, s[14:15]
	s_cbranch_execnz .LBB11_145
; %bb.146:                              ;   in Loop: Header=BB11_2 Depth=1
	s_or_b64 exec, exec, s[14:15]
.LBB11_147:                             ;   in Loop: Header=BB11_2 Depth=1
	s_or_b64 exec, exec, s[12:13]
.LBB11_148:                             ;   in Loop: Header=BB11_2 Depth=1
	s_or_b64 exec, exec, s[6:7]
	global_load_dwordx2 v[4:5], v3, s[8:9] offset:40
	global_load_dwordx4 v[20:23], v3, s[8:9]
	v_readfirstlane_b32 s7, v1
	v_readfirstlane_b32 s6, v0
	s_mov_b64 s[12:13], exec
	s_waitcnt vmcnt(1)
	v_readfirstlane_b32 s14, v4
	v_readfirstlane_b32 s15, v5
	s_and_b64 s[14:15], s[14:15], s[6:7]
	s_mul_i32 s16, s15, 24
	s_mul_hi_u32 s17, s14, 24
	s_add_i32 s17, s17, s16
	s_mul_i32 s16, s14, 24
	s_waitcnt vmcnt(0)
	v_lshl_add_u64 v[0:1], v[20:21], 0, s[16:17]
	s_and_saveexec_b64 s[16:17], s[0:1]
	s_cbranch_execz .LBB11_150
; %bb.149:                              ;   in Loop: Header=BB11_2 Depth=1
	v_mov_b64_e32 v[4:5], s[12:13]
	global_store_dwordx4 v[0:1], v[4:7], off offset:8
.LBB11_150:                             ;   in Loop: Header=BB11_2 Depth=1
	s_or_b64 exec, exec, s[16:17]
	s_lshl_b64 s[12:13], s[14:15], 12
	v_lshl_add_u64 v[4:5], v[22:23], 0, s[12:13]
	v_and_or_b32 v16, v16, s5, 32
	v_mov_b32_e32 v18, s4
	v_mov_b32_e32 v19, v3
	v_readfirstlane_b32 s12, v4
	v_readfirstlane_b32 s13, v5
	s_nop 4
	global_store_dwordx4 v38, v[16:19], s[12:13]
	global_store_dwordx4 v38, v[44:47], s[12:13] offset:16
	global_store_dwordx4 v38, v[44:47], s[12:13] offset:32
	;; [unrolled: 1-line block ×3, first 2 shown]
	s_and_saveexec_b64 s[12:13], s[0:1]
	s_cbranch_execz .LBB11_158
; %bb.151:                              ;   in Loop: Header=BB11_2 Depth=1
	global_load_dwordx2 v[24:25], v3, s[8:9] offset:32 sc0 sc1
	global_load_dwordx2 v[16:17], v3, s[8:9] offset:40
	v_mov_b32_e32 v22, s6
	v_mov_b32_e32 v23, s7
	s_waitcnt vmcnt(0)
	v_readfirstlane_b32 s14, v16
	v_readfirstlane_b32 s15, v17
	s_and_b64 s[14:15], s[14:15], s[6:7]
	s_mul_i32 s15, s15, 24
	s_mul_hi_u32 s16, s14, 24
	s_mul_i32 s14, s14, 24
	s_add_i32 s15, s16, s15
	v_lshl_add_u64 v[20:21], v[20:21], 0, s[14:15]
	global_store_dwordx2 v[20:21], v[24:25], off
	buffer_wbl2 sc0 sc1
	s_waitcnt vmcnt(0)
	global_atomic_cmpswap_x2 v[18:19], v3, v[22:25], s[8:9] offset:32 sc0 sc1
	s_waitcnt vmcnt(0)
	v_cmp_ne_u64_e32 vcc, v[18:19], v[24:25]
	s_and_saveexec_b64 s[14:15], vcc
	s_cbranch_execz .LBB11_154
; %bb.152:                              ;   in Loop: Header=BB11_2 Depth=1
	s_mov_b64 s[16:17], 0
.LBB11_153:                             ;   Parent Loop BB11_2 Depth=1
                                        ; =>  This Inner Loop Header: Depth=2
	s_sleep 1
	global_store_dwordx2 v[20:21], v[18:19], off
	v_mov_b32_e32 v16, s6
	v_mov_b32_e32 v17, s7
	buffer_wbl2 sc0 sc1
	s_waitcnt vmcnt(0)
	global_atomic_cmpswap_x2 v[16:17], v3, v[16:19], s[8:9] offset:32 sc0 sc1
	s_waitcnt vmcnt(0)
	v_cmp_eq_u64_e32 vcc, v[16:17], v[18:19]
	s_or_b64 s[16:17], vcc, s[16:17]
	v_mov_b64_e32 v[18:19], v[16:17]
	s_andn2_b64 exec, exec, s[16:17]
	s_cbranch_execnz .LBB11_153
.LBB11_154:                             ;   in Loop: Header=BB11_2 Depth=1
	s_or_b64 exec, exec, s[14:15]
	global_load_dwordx2 v[16:17], v3, s[8:9] offset:16
	s_mov_b64 s[16:17], exec
	v_mbcnt_lo_u32_b32 v2, s16, 0
	v_mbcnt_hi_u32_b32 v2, s17, v2
	v_cmp_eq_u32_e32 vcc, 0, v2
	s_and_saveexec_b64 s[14:15], vcc
	s_cbranch_execz .LBB11_156
; %bb.155:                              ;   in Loop: Header=BB11_2 Depth=1
	s_bcnt1_i32_b64 s16, s[16:17]
	v_mov_b32_e32 v2, s16
	buffer_wbl2 sc0 sc1
	s_waitcnt vmcnt(0)
	global_atomic_add_x2 v[16:17], v[2:3], off offset:8 sc1
.LBB11_156:                             ;   in Loop: Header=BB11_2 Depth=1
	s_or_b64 exec, exec, s[14:15]
	s_waitcnt vmcnt(0)
	global_load_dwordx2 v[18:19], v[16:17], off offset:16
	s_waitcnt vmcnt(0)
	v_cmp_eq_u64_e32 vcc, 0, v[18:19]
	s_cbranch_vccnz .LBB11_158
; %bb.157:                              ;   in Loop: Header=BB11_2 Depth=1
	global_load_dword v2, v[16:17], off offset:24
	s_waitcnt vmcnt(0)
	v_readfirstlane_b32 s14, v2
	s_and_b32 m0, s14, 0xffffff
	buffer_wbl2 sc0 sc1
	global_store_dwordx2 v[18:19], v[2:3], off sc0 sc1
	s_sendmsg sendmsg(MSG_INTERRUPT)
.LBB11_158:                             ;   in Loop: Header=BB11_2 Depth=1
	s_or_b64 exec, exec, s[12:13]
	v_mov_b32_e32 v39, v3
	v_lshl_add_u64 v[4:5], v[4:5], 0, v[38:39]
	s_branch .LBB11_162
.LBB11_159:                             ;   in Loop: Header=BB11_162 Depth=2
	s_or_b64 exec, exec, s[12:13]
	v_readfirstlane_b32 s12, v2
	s_cmp_eq_u32 s12, 0
	s_cbranch_scc1 .LBB11_161
; %bb.160:                              ;   in Loop: Header=BB11_162 Depth=2
	s_sleep 1
	s_cbranch_execnz .LBB11_162
	s_branch .LBB11_164
.LBB11_161:                             ;   in Loop: Header=BB11_2 Depth=1
	s_branch .LBB11_164
.LBB11_162:                             ;   Parent Loop BB11_2 Depth=1
                                        ; =>  This Inner Loop Header: Depth=2
	v_mov_b32_e32 v2, 1
	s_and_saveexec_b64 s[12:13], s[0:1]
	s_cbranch_execz .LBB11_159
; %bb.163:                              ;   in Loop: Header=BB11_162 Depth=2
	global_load_dword v2, v[0:1], off offset:20 sc0 sc1
	s_waitcnt vmcnt(0)
	buffer_inv sc0 sc1
	v_and_b32_e32 v2, 1, v2
	s_branch .LBB11_159
.LBB11_164:                             ;   in Loop: Header=BB11_2 Depth=1
	global_load_dwordx2 v[0:1], v[4:5], off
	s_and_saveexec_b64 s[12:13], s[0:1]
	s_cbranch_execz .LBB11_168
; %bb.165:                              ;   in Loop: Header=BB11_2 Depth=1
	global_load_dwordx2 v[4:5], v3, s[8:9] offset:40
	global_load_dwordx2 v[20:21], v3, s[8:9] offset:24 sc0 sc1
	global_load_dwordx2 v[16:17], v3, s[8:9]
	s_waitcnt vmcnt(2)
	v_readfirstlane_b32 s14, v4
	v_readfirstlane_b32 s15, v5
	s_add_u32 s16, s14, 1
	s_addc_u32 s17, s15, 0
	s_add_u32 s0, s16, s6
	s_addc_u32 s1, s17, s7
	s_cmp_eq_u64 s[0:1], 0
	s_cselect_b32 s1, s17, s1
	s_cselect_b32 s0, s16, s0
	s_and_b64 s[6:7], s[0:1], s[14:15]
	s_mul_i32 s7, s7, 24
	s_mul_hi_u32 s14, s6, 24
	s_mul_i32 s6, s6, 24
	s_add_i32 s7, s14, s7
	s_waitcnt vmcnt(0)
	v_lshl_add_u64 v[4:5], v[16:17], 0, s[6:7]
	v_mov_b32_e32 v18, s0
	global_store_dwordx2 v[4:5], v[20:21], off
	v_mov_b32_e32 v19, s1
	buffer_wbl2 sc0 sc1
	s_waitcnt vmcnt(0)
	global_atomic_cmpswap_x2 v[18:19], v3, v[18:21], s[8:9] offset:24 sc0 sc1
	s_waitcnt vmcnt(0)
	v_cmp_ne_u64_e32 vcc, v[18:19], v[20:21]
	s_and_b64 exec, exec, vcc
	s_cbranch_execz .LBB11_168
; %bb.166:                              ;   in Loop: Header=BB11_2 Depth=1
	s_mov_b64 s[6:7], 0
.LBB11_167:                             ;   Parent Loop BB11_2 Depth=1
                                        ; =>  This Inner Loop Header: Depth=2
	s_sleep 1
	global_store_dwordx2 v[4:5], v[18:19], off
	v_mov_b32_e32 v16, s0
	v_mov_b32_e32 v17, s1
	buffer_wbl2 sc0 sc1
	s_waitcnt vmcnt(0)
	global_atomic_cmpswap_x2 v[16:17], v3, v[16:19], s[8:9] offset:24 sc0 sc1
	s_waitcnt vmcnt(0)
	v_cmp_eq_u64_e32 vcc, v[16:17], v[18:19]
	s_or_b64 s[6:7], vcc, s[6:7]
	v_mov_b64_e32 v[18:19], v[16:17]
	s_andn2_b64 exec, exec, s[6:7]
	s_cbranch_execnz .LBB11_167
.LBB11_168:                             ;   in Loop: Header=BB11_2 Depth=1
	s_or_b64 exec, exec, s[12:13]
	v_readfirstlane_b32 s0, v36
	v_mov_b64_e32 v[4:5], 0
	s_nop 0
	v_cmp_eq_u32_e64 s[0:1], s0, v36
	s_and_saveexec_b64 s[6:7], s[0:1]
	s_cbranch_execz .LBB11_174
; %bb.169:                              ;   in Loop: Header=BB11_2 Depth=1
	global_load_dwordx2 v[18:19], v3, s[8:9] offset:24 sc0 sc1
	s_waitcnt vmcnt(0)
	buffer_inv sc0 sc1
	global_load_dwordx2 v[4:5], v3, s[8:9] offset:40
	global_load_dwordx2 v[16:17], v3, s[8:9]
	s_waitcnt vmcnt(1)
	v_and_b32_e32 v2, v4, v18
	v_and_b32_e32 v4, v5, v19
	v_mul_lo_u32 v4, v4, 24
	v_mul_hi_u32 v5, v2, 24
	v_add_u32_e32 v5, v5, v4
	v_mul_lo_u32 v4, v2, 24
	s_waitcnt vmcnt(0)
	v_lshl_add_u64 v[4:5], v[16:17], 0, v[4:5]
	global_load_dwordx2 v[16:17], v[4:5], off sc0 sc1
	s_waitcnt vmcnt(0)
	global_atomic_cmpswap_x2 v[4:5], v3, v[16:19], s[8:9] offset:24 sc0 sc1
	s_waitcnt vmcnt(0)
	buffer_inv sc0 sc1
	v_cmp_ne_u64_e32 vcc, v[4:5], v[18:19]
	s_and_saveexec_b64 s[12:13], vcc
	s_cbranch_execz .LBB11_173
; %bb.170:                              ;   in Loop: Header=BB11_2 Depth=1
	s_mov_b64 s[14:15], 0
.LBB11_171:                             ;   Parent Loop BB11_2 Depth=1
                                        ; =>  This Inner Loop Header: Depth=2
	s_sleep 1
	global_load_dwordx2 v[16:17], v3, s[8:9] offset:40
	global_load_dwordx2 v[20:21], v3, s[8:9]
	v_mov_b64_e32 v[18:19], v[4:5]
	s_waitcnt vmcnt(1)
	v_and_b32_e32 v2, v16, v18
	s_waitcnt vmcnt(0)
	v_mad_u64_u32 v[4:5], s[16:17], v2, 24, v[20:21]
	v_and_b32_e32 v17, v17, v19
	v_mov_b32_e32 v2, v5
	v_mad_u64_u32 v[16:17], s[16:17], v17, 24, v[2:3]
	v_mov_b32_e32 v5, v16
	global_load_dwordx2 v[16:17], v[4:5], off sc0 sc1
	s_waitcnt vmcnt(0)
	global_atomic_cmpswap_x2 v[4:5], v3, v[16:19], s[8:9] offset:24 sc0 sc1
	s_waitcnt vmcnt(0)
	buffer_inv sc0 sc1
	v_cmp_eq_u64_e32 vcc, v[4:5], v[18:19]
	s_or_b64 s[14:15], vcc, s[14:15]
	s_andn2_b64 exec, exec, s[14:15]
	s_cbranch_execnz .LBB11_171
; %bb.172:                              ;   in Loop: Header=BB11_2 Depth=1
	s_or_b64 exec, exec, s[14:15]
.LBB11_173:                             ;   in Loop: Header=BB11_2 Depth=1
	s_or_b64 exec, exec, s[12:13]
.LBB11_174:                             ;   in Loop: Header=BB11_2 Depth=1
	s_or_b64 exec, exec, s[6:7]
	global_load_dwordx2 v[20:21], v3, s[8:9] offset:40
	global_load_dwordx4 v[16:19], v3, s[8:9]
	v_readfirstlane_b32 s7, v5
	v_readfirstlane_b32 s6, v4
	s_mov_b64 s[12:13], exec
	s_waitcnt vmcnt(1)
	v_readfirstlane_b32 s14, v20
	v_readfirstlane_b32 s15, v21
	s_and_b64 s[14:15], s[14:15], s[6:7]
	s_mul_i32 s16, s15, 24
	s_mul_hi_u32 s17, s14, 24
	s_add_i32 s17, s17, s16
	s_mul_i32 s16, s14, 24
	s_waitcnt vmcnt(0)
	v_lshl_add_u64 v[20:21], v[16:17], 0, s[16:17]
	s_and_saveexec_b64 s[16:17], s[0:1]
	s_cbranch_execz .LBB11_176
; %bb.175:                              ;   in Loop: Header=BB11_2 Depth=1
	v_mov_b64_e32 v[4:5], s[12:13]
	global_store_dwordx4 v[20:21], v[4:7], off offset:8
.LBB11_176:                             ;   in Loop: Header=BB11_2 Depth=1
	s_or_b64 exec, exec, s[16:17]
	s_lshl_b64 s[12:13], s[14:15], 12
	v_lshl_add_u64 v[4:5], v[18:19], 0, s[12:13]
	v_and_b32_e32 v2, 0xffff, v37
	v_and_or_b32 v0, v0, s5, 32
	v_readfirstlane_b32 s12, v4
	v_readfirstlane_b32 s13, v5
	s_nop 4
	global_store_dwordx4 v38, v[0:3], s[12:13]
	global_store_dwordx4 v38, v[44:47], s[12:13] offset:16
	global_store_dwordx4 v38, v[44:47], s[12:13] offset:32
	;; [unrolled: 1-line block ×3, first 2 shown]
	s_and_saveexec_b64 s[12:13], s[0:1]
	s_cbranch_execz .LBB11_184
; %bb.177:                              ;   in Loop: Header=BB11_2 Depth=1
	global_load_dwordx2 v[24:25], v3, s[8:9] offset:32 sc0 sc1
	global_load_dwordx2 v[0:1], v3, s[8:9] offset:40
	v_mov_b32_e32 v22, s6
	v_mov_b32_e32 v23, s7
	s_waitcnt vmcnt(0)
	v_readfirstlane_b32 s14, v0
	v_readfirstlane_b32 s15, v1
	s_and_b64 s[14:15], s[14:15], s[6:7]
	s_mul_i32 s15, s15, 24
	s_mul_hi_u32 s16, s14, 24
	s_mul_i32 s14, s14, 24
	s_add_i32 s15, s16, s15
	v_lshl_add_u64 v[0:1], v[16:17], 0, s[14:15]
	global_store_dwordx2 v[0:1], v[24:25], off
	buffer_wbl2 sc0 sc1
	s_waitcnt vmcnt(0)
	global_atomic_cmpswap_x2 v[18:19], v3, v[22:25], s[8:9] offset:32 sc0 sc1
	s_waitcnt vmcnt(0)
	v_cmp_ne_u64_e32 vcc, v[18:19], v[24:25]
	s_and_saveexec_b64 s[14:15], vcc
	s_cbranch_execz .LBB11_180
; %bb.178:                              ;   in Loop: Header=BB11_2 Depth=1
	s_mov_b64 s[16:17], 0
.LBB11_179:                             ;   Parent Loop BB11_2 Depth=1
                                        ; =>  This Inner Loop Header: Depth=2
	s_sleep 1
	global_store_dwordx2 v[0:1], v[18:19], off
	v_mov_b32_e32 v16, s6
	v_mov_b32_e32 v17, s7
	buffer_wbl2 sc0 sc1
	s_waitcnt vmcnt(0)
	global_atomic_cmpswap_x2 v[16:17], v3, v[16:19], s[8:9] offset:32 sc0 sc1
	s_waitcnt vmcnt(0)
	v_cmp_eq_u64_e32 vcc, v[16:17], v[18:19]
	s_or_b64 s[16:17], vcc, s[16:17]
	v_mov_b64_e32 v[18:19], v[16:17]
	s_andn2_b64 exec, exec, s[16:17]
	s_cbranch_execnz .LBB11_179
.LBB11_180:                             ;   in Loop: Header=BB11_2 Depth=1
	s_or_b64 exec, exec, s[14:15]
	global_load_dwordx2 v[0:1], v3, s[8:9] offset:16
	s_mov_b64 s[16:17], exec
	v_mbcnt_lo_u32_b32 v2, s16, 0
	v_mbcnt_hi_u32_b32 v2, s17, v2
	v_cmp_eq_u32_e32 vcc, 0, v2
	s_and_saveexec_b64 s[14:15], vcc
	s_cbranch_execz .LBB11_182
; %bb.181:                              ;   in Loop: Header=BB11_2 Depth=1
	s_bcnt1_i32_b64 s16, s[16:17]
	v_mov_b32_e32 v2, s16
	buffer_wbl2 sc0 sc1
	s_waitcnt vmcnt(0)
	global_atomic_add_x2 v[0:1], v[2:3], off offset:8 sc1
.LBB11_182:                             ;   in Loop: Header=BB11_2 Depth=1
	s_or_b64 exec, exec, s[14:15]
	s_waitcnt vmcnt(0)
	global_load_dwordx2 v[16:17], v[0:1], off offset:16
	s_waitcnt vmcnt(0)
	v_cmp_eq_u64_e32 vcc, 0, v[16:17]
	s_cbranch_vccnz .LBB11_184
; %bb.183:                              ;   in Loop: Header=BB11_2 Depth=1
	global_load_dword v2, v[0:1], off offset:24
	s_waitcnt vmcnt(0)
	v_readfirstlane_b32 s14, v2
	s_and_b32 m0, s14, 0xffffff
	buffer_wbl2 sc0 sc1
	global_store_dwordx2 v[16:17], v[2:3], off sc0 sc1
	s_sendmsg sendmsg(MSG_INTERRUPT)
.LBB11_184:                             ;   in Loop: Header=BB11_2 Depth=1
	s_or_b64 exec, exec, s[12:13]
	v_mov_b32_e32 v39, v3
	v_lshl_add_u64 v[0:1], v[4:5], 0, v[38:39]
	s_branch .LBB11_188
.LBB11_185:                             ;   in Loop: Header=BB11_188 Depth=2
	s_or_b64 exec, exec, s[12:13]
	v_readfirstlane_b32 s12, v2
	s_cmp_eq_u32 s12, 0
	s_cbranch_scc1 .LBB11_187
; %bb.186:                              ;   in Loop: Header=BB11_188 Depth=2
	s_sleep 1
	s_cbranch_execnz .LBB11_188
	s_branch .LBB11_190
.LBB11_187:                             ;   in Loop: Header=BB11_2 Depth=1
	s_branch .LBB11_190
.LBB11_188:                             ;   Parent Loop BB11_2 Depth=1
                                        ; =>  This Inner Loop Header: Depth=2
	v_mov_b32_e32 v2, 1
	s_and_saveexec_b64 s[12:13], s[0:1]
	s_cbranch_execz .LBB11_185
; %bb.189:                              ;   in Loop: Header=BB11_188 Depth=2
	global_load_dword v2, v[20:21], off offset:20 sc0 sc1
	s_waitcnt vmcnt(0)
	buffer_inv sc0 sc1
	v_and_b32_e32 v2, 1, v2
	s_branch .LBB11_185
.LBB11_190:                             ;   in Loop: Header=BB11_2 Depth=1
	global_load_dwordx2 v[0:1], v[0:1], off
	s_and_saveexec_b64 s[12:13], s[0:1]
	s_cbranch_execz .LBB11_194
; %bb.191:                              ;   in Loop: Header=BB11_2 Depth=1
	global_load_dwordx2 v[4:5], v3, s[8:9] offset:40
	global_load_dwordx2 v[20:21], v3, s[8:9] offset:24 sc0 sc1
	global_load_dwordx2 v[16:17], v3, s[8:9]
	s_waitcnt vmcnt(2)
	v_readfirstlane_b32 s14, v4
	v_readfirstlane_b32 s15, v5
	s_add_u32 s16, s14, 1
	s_addc_u32 s17, s15, 0
	s_add_u32 s0, s16, s6
	s_addc_u32 s1, s17, s7
	s_cmp_eq_u64 s[0:1], 0
	s_cselect_b32 s1, s17, s1
	s_cselect_b32 s0, s16, s0
	s_and_b64 s[6:7], s[0:1], s[14:15]
	s_mul_i32 s7, s7, 24
	s_mul_hi_u32 s14, s6, 24
	s_mul_i32 s6, s6, 24
	s_add_i32 s7, s14, s7
	s_waitcnt vmcnt(0)
	v_lshl_add_u64 v[4:5], v[16:17], 0, s[6:7]
	v_mov_b32_e32 v18, s0
	global_store_dwordx2 v[4:5], v[20:21], off
	v_mov_b32_e32 v19, s1
	buffer_wbl2 sc0 sc1
	s_waitcnt vmcnt(0)
	global_atomic_cmpswap_x2 v[18:19], v3, v[18:21], s[8:9] offset:24 sc0 sc1
	s_waitcnt vmcnt(0)
	v_cmp_ne_u64_e32 vcc, v[18:19], v[20:21]
	s_and_b64 exec, exec, vcc
	s_cbranch_execz .LBB11_194
; %bb.192:                              ;   in Loop: Header=BB11_2 Depth=1
	s_mov_b64 s[6:7], 0
.LBB11_193:                             ;   Parent Loop BB11_2 Depth=1
                                        ; =>  This Inner Loop Header: Depth=2
	s_sleep 1
	global_store_dwordx2 v[4:5], v[18:19], off
	v_mov_b32_e32 v16, s0
	v_mov_b32_e32 v17, s1
	buffer_wbl2 sc0 sc1
	s_waitcnt vmcnt(0)
	global_atomic_cmpswap_x2 v[16:17], v3, v[16:19], s[8:9] offset:24 sc0 sc1
	s_waitcnt vmcnt(0)
	v_cmp_eq_u64_e32 vcc, v[16:17], v[18:19]
	s_or_b64 s[6:7], vcc, s[6:7]
	v_mov_b64_e32 v[18:19], v[16:17]
	s_andn2_b64 exec, exec, s[6:7]
	s_cbranch_execnz .LBB11_193
.LBB11_194:                             ;   in Loop: Header=BB11_2 Depth=1
	s_or_b64 exec, exec, s[12:13]
	v_readfirstlane_b32 s0, v36
	v_mov_b64_e32 v[4:5], 0
	s_nop 0
	v_cmp_eq_u32_e64 s[0:1], s0, v36
	s_and_saveexec_b64 s[6:7], s[0:1]
	s_cbranch_execz .LBB11_200
; %bb.195:                              ;   in Loop: Header=BB11_2 Depth=1
	global_load_dwordx2 v[18:19], v3, s[8:9] offset:24 sc0 sc1
	s_waitcnt vmcnt(0)
	buffer_inv sc0 sc1
	global_load_dwordx2 v[4:5], v3, s[8:9] offset:40
	global_load_dwordx2 v[16:17], v3, s[8:9]
	s_waitcnt vmcnt(1)
	v_and_b32_e32 v2, v4, v18
	v_and_b32_e32 v4, v5, v19
	v_mul_lo_u32 v4, v4, 24
	v_mul_hi_u32 v5, v2, 24
	v_add_u32_e32 v5, v5, v4
	v_mul_lo_u32 v4, v2, 24
	s_waitcnt vmcnt(0)
	v_lshl_add_u64 v[4:5], v[16:17], 0, v[4:5]
	global_load_dwordx2 v[16:17], v[4:5], off sc0 sc1
	s_waitcnt vmcnt(0)
	global_atomic_cmpswap_x2 v[4:5], v3, v[16:19], s[8:9] offset:24 sc0 sc1
	s_waitcnt vmcnt(0)
	buffer_inv sc0 sc1
	v_cmp_ne_u64_e32 vcc, v[4:5], v[18:19]
	s_and_saveexec_b64 s[12:13], vcc
	s_cbranch_execz .LBB11_199
; %bb.196:                              ;   in Loop: Header=BB11_2 Depth=1
	s_mov_b64 s[14:15], 0
.LBB11_197:                             ;   Parent Loop BB11_2 Depth=1
                                        ; =>  This Inner Loop Header: Depth=2
	s_sleep 1
	global_load_dwordx2 v[16:17], v3, s[8:9] offset:40
	global_load_dwordx2 v[20:21], v3, s[8:9]
	v_mov_b64_e32 v[18:19], v[4:5]
	s_waitcnt vmcnt(1)
	v_and_b32_e32 v2, v16, v18
	s_waitcnt vmcnt(0)
	v_mad_u64_u32 v[4:5], s[16:17], v2, 24, v[20:21]
	v_and_b32_e32 v17, v17, v19
	v_mov_b32_e32 v2, v5
	v_mad_u64_u32 v[16:17], s[16:17], v17, 24, v[2:3]
	v_mov_b32_e32 v5, v16
	global_load_dwordx2 v[16:17], v[4:5], off sc0 sc1
	s_waitcnt vmcnt(0)
	global_atomic_cmpswap_x2 v[4:5], v3, v[16:19], s[8:9] offset:24 sc0 sc1
	s_waitcnt vmcnt(0)
	buffer_inv sc0 sc1
	v_cmp_eq_u64_e32 vcc, v[4:5], v[18:19]
	s_or_b64 s[14:15], vcc, s[14:15]
	s_andn2_b64 exec, exec, s[14:15]
	s_cbranch_execnz .LBB11_197
; %bb.198:                              ;   in Loop: Header=BB11_2 Depth=1
	s_or_b64 exec, exec, s[14:15]
.LBB11_199:                             ;   in Loop: Header=BB11_2 Depth=1
	s_or_b64 exec, exec, s[12:13]
.LBB11_200:                             ;   in Loop: Header=BB11_2 Depth=1
	s_or_b64 exec, exec, s[6:7]
	global_load_dwordx2 v[20:21], v3, s[8:9] offset:40
	global_load_dwordx4 v[16:19], v3, s[8:9]
	v_readfirstlane_b32 s7, v5
	v_readfirstlane_b32 s6, v4
	s_mov_b64 s[12:13], exec
	s_waitcnt vmcnt(1)
	v_readfirstlane_b32 s14, v20
	v_readfirstlane_b32 s15, v21
	s_and_b64 s[14:15], s[14:15], s[6:7]
	s_mul_i32 s16, s15, 24
	s_mul_hi_u32 s17, s14, 24
	s_add_i32 s17, s17, s16
	s_mul_i32 s16, s14, 24
	s_waitcnt vmcnt(0)
	v_lshl_add_u64 v[20:21], v[16:17], 0, s[16:17]
	s_and_saveexec_b64 s[16:17], s[0:1]
	s_cbranch_execz .LBB11_202
; %bb.201:                              ;   in Loop: Header=BB11_2 Depth=1
	v_mov_b64_e32 v[4:5], s[12:13]
	global_store_dwordx4 v[20:21], v[4:7], off offset:8
.LBB11_202:                             ;   in Loop: Header=BB11_2 Depth=1
	s_or_b64 exec, exec, s[16:17]
	s_lshl_b64 s[12:13], s[14:15], 12
	v_lshl_add_u64 v[4:5], v[18:19], 0, s[12:13]
	v_and_b32_e32 v2, 0xff, v41
	v_and_or_b32 v0, v0, s5, 32
	v_readfirstlane_b32 s12, v4
	v_readfirstlane_b32 s13, v5
	s_nop 4
	global_store_dwordx4 v38, v[0:3], s[12:13]
	global_store_dwordx4 v38, v[44:47], s[12:13] offset:16
	global_store_dwordx4 v38, v[44:47], s[12:13] offset:32
	;; [unrolled: 1-line block ×3, first 2 shown]
	s_and_saveexec_b64 s[12:13], s[0:1]
	s_cbranch_execz .LBB11_210
; %bb.203:                              ;   in Loop: Header=BB11_2 Depth=1
	global_load_dwordx2 v[24:25], v3, s[8:9] offset:32 sc0 sc1
	global_load_dwordx2 v[0:1], v3, s[8:9] offset:40
	v_mov_b32_e32 v22, s6
	v_mov_b32_e32 v23, s7
	s_waitcnt vmcnt(0)
	v_readfirstlane_b32 s14, v0
	v_readfirstlane_b32 s15, v1
	s_and_b64 s[14:15], s[14:15], s[6:7]
	s_mul_i32 s15, s15, 24
	s_mul_hi_u32 s16, s14, 24
	s_mul_i32 s14, s14, 24
	s_add_i32 s15, s16, s15
	v_lshl_add_u64 v[0:1], v[16:17], 0, s[14:15]
	global_store_dwordx2 v[0:1], v[24:25], off
	buffer_wbl2 sc0 sc1
	s_waitcnt vmcnt(0)
	global_atomic_cmpswap_x2 v[18:19], v3, v[22:25], s[8:9] offset:32 sc0 sc1
	s_waitcnt vmcnt(0)
	v_cmp_ne_u64_e32 vcc, v[18:19], v[24:25]
	s_and_saveexec_b64 s[14:15], vcc
	s_cbranch_execz .LBB11_206
; %bb.204:                              ;   in Loop: Header=BB11_2 Depth=1
	s_mov_b64 s[16:17], 0
.LBB11_205:                             ;   Parent Loop BB11_2 Depth=1
                                        ; =>  This Inner Loop Header: Depth=2
	s_sleep 1
	global_store_dwordx2 v[0:1], v[18:19], off
	v_mov_b32_e32 v16, s6
	v_mov_b32_e32 v17, s7
	buffer_wbl2 sc0 sc1
	s_waitcnt vmcnt(0)
	global_atomic_cmpswap_x2 v[16:17], v3, v[16:19], s[8:9] offset:32 sc0 sc1
	s_waitcnt vmcnt(0)
	v_cmp_eq_u64_e32 vcc, v[16:17], v[18:19]
	s_or_b64 s[16:17], vcc, s[16:17]
	v_mov_b64_e32 v[18:19], v[16:17]
	s_andn2_b64 exec, exec, s[16:17]
	s_cbranch_execnz .LBB11_205
.LBB11_206:                             ;   in Loop: Header=BB11_2 Depth=1
	s_or_b64 exec, exec, s[14:15]
	global_load_dwordx2 v[0:1], v3, s[8:9] offset:16
	s_mov_b64 s[16:17], exec
	v_mbcnt_lo_u32_b32 v2, s16, 0
	v_mbcnt_hi_u32_b32 v2, s17, v2
	v_cmp_eq_u32_e32 vcc, 0, v2
	s_and_saveexec_b64 s[14:15], vcc
	s_cbranch_execz .LBB11_208
; %bb.207:                              ;   in Loop: Header=BB11_2 Depth=1
	s_bcnt1_i32_b64 s16, s[16:17]
	v_mov_b32_e32 v2, s16
	buffer_wbl2 sc0 sc1
	s_waitcnt vmcnt(0)
	global_atomic_add_x2 v[0:1], v[2:3], off offset:8 sc1
.LBB11_208:                             ;   in Loop: Header=BB11_2 Depth=1
	s_or_b64 exec, exec, s[14:15]
	s_waitcnt vmcnt(0)
	global_load_dwordx2 v[16:17], v[0:1], off offset:16
	s_waitcnt vmcnt(0)
	v_cmp_eq_u64_e32 vcc, 0, v[16:17]
	s_cbranch_vccnz .LBB11_210
; %bb.209:                              ;   in Loop: Header=BB11_2 Depth=1
	global_load_dword v2, v[0:1], off offset:24
	s_waitcnt vmcnt(0)
	v_readfirstlane_b32 s14, v2
	s_and_b32 m0, s14, 0xffffff
	buffer_wbl2 sc0 sc1
	global_store_dwordx2 v[16:17], v[2:3], off sc0 sc1
	s_sendmsg sendmsg(MSG_INTERRUPT)
.LBB11_210:                             ;   in Loop: Header=BB11_2 Depth=1
	s_or_b64 exec, exec, s[12:13]
	v_mov_b32_e32 v39, v3
	v_lshl_add_u64 v[0:1], v[4:5], 0, v[38:39]
	s_branch .LBB11_214
.LBB11_211:                             ;   in Loop: Header=BB11_214 Depth=2
	s_or_b64 exec, exec, s[12:13]
	v_readfirstlane_b32 s12, v2
	s_cmp_eq_u32 s12, 0
	s_cbranch_scc1 .LBB11_213
; %bb.212:                              ;   in Loop: Header=BB11_214 Depth=2
	s_sleep 1
	s_cbranch_execnz .LBB11_214
	s_branch .LBB11_216
.LBB11_213:                             ;   in Loop: Header=BB11_2 Depth=1
	s_branch .LBB11_216
.LBB11_214:                             ;   Parent Loop BB11_2 Depth=1
                                        ; =>  This Inner Loop Header: Depth=2
	v_mov_b32_e32 v2, 1
	s_and_saveexec_b64 s[12:13], s[0:1]
	s_cbranch_execz .LBB11_211
; %bb.215:                              ;   in Loop: Header=BB11_214 Depth=2
	global_load_dword v2, v[20:21], off offset:20 sc0 sc1
	s_waitcnt vmcnt(0)
	buffer_inv sc0 sc1
	v_and_b32_e32 v2, 1, v2
	s_branch .LBB11_211
.LBB11_216:                             ;   in Loop: Header=BB11_2 Depth=1
	global_load_dwordx2 v[0:1], v[0:1], off
	s_and_saveexec_b64 s[12:13], s[0:1]
	s_cbranch_execz .LBB11_220
; %bb.217:                              ;   in Loop: Header=BB11_2 Depth=1
	global_load_dwordx2 v[4:5], v3, s[8:9] offset:40
	global_load_dwordx2 v[20:21], v3, s[8:9] offset:24 sc0 sc1
	global_load_dwordx2 v[16:17], v3, s[8:9]
	s_waitcnt vmcnt(2)
	v_readfirstlane_b32 s14, v4
	v_readfirstlane_b32 s15, v5
	s_add_u32 s16, s14, 1
	s_addc_u32 s17, s15, 0
	s_add_u32 s0, s16, s6
	s_addc_u32 s1, s17, s7
	s_cmp_eq_u64 s[0:1], 0
	s_cselect_b32 s1, s17, s1
	s_cselect_b32 s0, s16, s0
	s_and_b64 s[6:7], s[0:1], s[14:15]
	s_mul_i32 s7, s7, 24
	s_mul_hi_u32 s14, s6, 24
	s_mul_i32 s6, s6, 24
	s_add_i32 s7, s14, s7
	s_waitcnt vmcnt(0)
	v_lshl_add_u64 v[4:5], v[16:17], 0, s[6:7]
	v_mov_b32_e32 v18, s0
	global_store_dwordx2 v[4:5], v[20:21], off
	v_mov_b32_e32 v19, s1
	buffer_wbl2 sc0 sc1
	s_waitcnt vmcnt(0)
	global_atomic_cmpswap_x2 v[18:19], v3, v[18:21], s[8:9] offset:24 sc0 sc1
	s_waitcnt vmcnt(0)
	v_cmp_ne_u64_e32 vcc, v[18:19], v[20:21]
	s_and_b64 exec, exec, vcc
	s_cbranch_execz .LBB11_220
; %bb.218:                              ;   in Loop: Header=BB11_2 Depth=1
	s_mov_b64 s[6:7], 0
.LBB11_219:                             ;   Parent Loop BB11_2 Depth=1
                                        ; =>  This Inner Loop Header: Depth=2
	s_sleep 1
	global_store_dwordx2 v[4:5], v[18:19], off
	v_mov_b32_e32 v16, s0
	v_mov_b32_e32 v17, s1
	buffer_wbl2 sc0 sc1
	s_waitcnt vmcnt(0)
	global_atomic_cmpswap_x2 v[16:17], v3, v[16:19], s[8:9] offset:24 sc0 sc1
	s_waitcnt vmcnt(0)
	v_cmp_eq_u64_e32 vcc, v[16:17], v[18:19]
	s_or_b64 s[6:7], vcc, s[6:7]
	v_mov_b64_e32 v[18:19], v[16:17]
	s_andn2_b64 exec, exec, s[6:7]
	s_cbranch_execnz .LBB11_219
.LBB11_220:                             ;   in Loop: Header=BB11_2 Depth=1
	s_or_b64 exec, exec, s[12:13]
	v_readfirstlane_b32 s0, v36
	v_mov_b64_e32 v[4:5], 0
	s_nop 0
	v_cmp_eq_u32_e64 s[0:1], s0, v36
	s_and_saveexec_b64 s[6:7], s[0:1]
	s_cbranch_execz .LBB11_226
; %bb.221:                              ;   in Loop: Header=BB11_2 Depth=1
	global_load_dwordx2 v[18:19], v3, s[8:9] offset:24 sc0 sc1
	s_waitcnt vmcnt(0)
	buffer_inv sc0 sc1
	global_load_dwordx2 v[4:5], v3, s[8:9] offset:40
	global_load_dwordx2 v[16:17], v3, s[8:9]
	s_waitcnt vmcnt(1)
	v_and_b32_e32 v2, v4, v18
	v_and_b32_e32 v4, v5, v19
	v_mul_lo_u32 v4, v4, 24
	v_mul_hi_u32 v5, v2, 24
	v_add_u32_e32 v5, v5, v4
	v_mul_lo_u32 v4, v2, 24
	s_waitcnt vmcnt(0)
	v_lshl_add_u64 v[4:5], v[16:17], 0, v[4:5]
	global_load_dwordx2 v[16:17], v[4:5], off sc0 sc1
	s_waitcnt vmcnt(0)
	global_atomic_cmpswap_x2 v[4:5], v3, v[16:19], s[8:9] offset:24 sc0 sc1
	s_waitcnt vmcnt(0)
	buffer_inv sc0 sc1
	v_cmp_ne_u64_e32 vcc, v[4:5], v[18:19]
	s_and_saveexec_b64 s[12:13], vcc
	s_cbranch_execz .LBB11_225
; %bb.222:                              ;   in Loop: Header=BB11_2 Depth=1
	s_mov_b64 s[14:15], 0
.LBB11_223:                             ;   Parent Loop BB11_2 Depth=1
                                        ; =>  This Inner Loop Header: Depth=2
	s_sleep 1
	global_load_dwordx2 v[16:17], v3, s[8:9] offset:40
	global_load_dwordx2 v[20:21], v3, s[8:9]
	v_mov_b64_e32 v[18:19], v[4:5]
	s_waitcnt vmcnt(1)
	v_and_b32_e32 v2, v16, v18
	s_waitcnt vmcnt(0)
	v_mad_u64_u32 v[4:5], s[16:17], v2, 24, v[20:21]
	v_and_b32_e32 v17, v17, v19
	v_mov_b32_e32 v2, v5
	v_mad_u64_u32 v[16:17], s[16:17], v17, 24, v[2:3]
	v_mov_b32_e32 v5, v16
	global_load_dwordx2 v[16:17], v[4:5], off sc0 sc1
	s_waitcnt vmcnt(0)
	global_atomic_cmpswap_x2 v[4:5], v3, v[16:19], s[8:9] offset:24 sc0 sc1
	s_waitcnt vmcnt(0)
	buffer_inv sc0 sc1
	v_cmp_eq_u64_e32 vcc, v[4:5], v[18:19]
	s_or_b64 s[14:15], vcc, s[14:15]
	s_andn2_b64 exec, exec, s[14:15]
	s_cbranch_execnz .LBB11_223
; %bb.224:                              ;   in Loop: Header=BB11_2 Depth=1
	s_or_b64 exec, exec, s[14:15]
.LBB11_225:                             ;   in Loop: Header=BB11_2 Depth=1
	s_or_b64 exec, exec, s[12:13]
.LBB11_226:                             ;   in Loop: Header=BB11_2 Depth=1
	s_or_b64 exec, exec, s[6:7]
	global_load_dwordx2 v[20:21], v3, s[8:9] offset:40
	global_load_dwordx4 v[16:19], v3, s[8:9]
	v_readfirstlane_b32 s7, v5
	v_readfirstlane_b32 s6, v4
	s_mov_b64 s[12:13], exec
	s_waitcnt vmcnt(1)
	v_readfirstlane_b32 s14, v20
	v_readfirstlane_b32 s15, v21
	s_and_b64 s[14:15], s[14:15], s[6:7]
	s_mul_i32 s16, s15, 24
	s_mul_hi_u32 s17, s14, 24
	s_add_i32 s17, s17, s16
	s_mul_i32 s16, s14, 24
	s_waitcnt vmcnt(0)
	v_lshl_add_u64 v[20:21], v[16:17], 0, s[16:17]
	s_and_saveexec_b64 s[16:17], s[0:1]
	s_cbranch_execz .LBB11_228
; %bb.227:                              ;   in Loop: Header=BB11_2 Depth=1
	v_mov_b64_e32 v[4:5], s[12:13]
	global_store_dwordx4 v[20:21], v[4:7], off offset:8
.LBB11_228:                             ;   in Loop: Header=BB11_2 Depth=1
	s_or_b64 exec, exec, s[16:17]
	s_lshl_b64 s[12:13], s[14:15], 12
	v_lshl_add_u64 v[4:5], v[18:19], 0, s[12:13]
	v_bfe_u32 v2, v37, 27, 4
	v_and_or_b32 v0, v0, s5, 32
	v_readfirstlane_b32 s12, v4
	v_readfirstlane_b32 s13, v5
	s_nop 4
	global_store_dwordx4 v38, v[0:3], s[12:13]
	global_store_dwordx4 v38, v[44:47], s[12:13] offset:16
	global_store_dwordx4 v38, v[44:47], s[12:13] offset:32
	;; [unrolled: 1-line block ×3, first 2 shown]
	s_and_saveexec_b64 s[12:13], s[0:1]
	s_cbranch_execz .LBB11_236
; %bb.229:                              ;   in Loop: Header=BB11_2 Depth=1
	global_load_dwordx2 v[24:25], v3, s[8:9] offset:32 sc0 sc1
	global_load_dwordx2 v[0:1], v3, s[8:9] offset:40
	v_mov_b32_e32 v22, s6
	v_mov_b32_e32 v23, s7
	s_waitcnt vmcnt(0)
	v_readfirstlane_b32 s14, v0
	v_readfirstlane_b32 s15, v1
	s_and_b64 s[14:15], s[14:15], s[6:7]
	s_mul_i32 s15, s15, 24
	s_mul_hi_u32 s16, s14, 24
	s_mul_i32 s14, s14, 24
	s_add_i32 s15, s16, s15
	v_lshl_add_u64 v[0:1], v[16:17], 0, s[14:15]
	global_store_dwordx2 v[0:1], v[24:25], off
	buffer_wbl2 sc0 sc1
	s_waitcnt vmcnt(0)
	global_atomic_cmpswap_x2 v[18:19], v3, v[22:25], s[8:9] offset:32 sc0 sc1
	s_waitcnt vmcnt(0)
	v_cmp_ne_u64_e32 vcc, v[18:19], v[24:25]
	s_and_saveexec_b64 s[14:15], vcc
	s_cbranch_execz .LBB11_232
; %bb.230:                              ;   in Loop: Header=BB11_2 Depth=1
	s_mov_b64 s[16:17], 0
.LBB11_231:                             ;   Parent Loop BB11_2 Depth=1
                                        ; =>  This Inner Loop Header: Depth=2
	s_sleep 1
	global_store_dwordx2 v[0:1], v[18:19], off
	v_mov_b32_e32 v16, s6
	v_mov_b32_e32 v17, s7
	buffer_wbl2 sc0 sc1
	s_waitcnt vmcnt(0)
	global_atomic_cmpswap_x2 v[16:17], v3, v[16:19], s[8:9] offset:32 sc0 sc1
	s_waitcnt vmcnt(0)
	v_cmp_eq_u64_e32 vcc, v[16:17], v[18:19]
	s_or_b64 s[16:17], vcc, s[16:17]
	v_mov_b64_e32 v[18:19], v[16:17]
	s_andn2_b64 exec, exec, s[16:17]
	s_cbranch_execnz .LBB11_231
.LBB11_232:                             ;   in Loop: Header=BB11_2 Depth=1
	s_or_b64 exec, exec, s[14:15]
	global_load_dwordx2 v[0:1], v3, s[8:9] offset:16
	s_mov_b64 s[16:17], exec
	v_mbcnt_lo_u32_b32 v2, s16, 0
	v_mbcnt_hi_u32_b32 v2, s17, v2
	v_cmp_eq_u32_e32 vcc, 0, v2
	s_and_saveexec_b64 s[14:15], vcc
	s_cbranch_execz .LBB11_234
; %bb.233:                              ;   in Loop: Header=BB11_2 Depth=1
	s_bcnt1_i32_b64 s16, s[16:17]
	v_mov_b32_e32 v2, s16
	buffer_wbl2 sc0 sc1
	s_waitcnt vmcnt(0)
	global_atomic_add_x2 v[0:1], v[2:3], off offset:8 sc1
.LBB11_234:                             ;   in Loop: Header=BB11_2 Depth=1
	s_or_b64 exec, exec, s[14:15]
	s_waitcnt vmcnt(0)
	global_load_dwordx2 v[16:17], v[0:1], off offset:16
	s_waitcnt vmcnt(0)
	v_cmp_eq_u64_e32 vcc, 0, v[16:17]
	s_cbranch_vccnz .LBB11_236
; %bb.235:                              ;   in Loop: Header=BB11_2 Depth=1
	global_load_dword v2, v[0:1], off offset:24
	s_waitcnt vmcnt(0)
	v_readfirstlane_b32 s14, v2
	s_and_b32 m0, s14, 0xffffff
	buffer_wbl2 sc0 sc1
	global_store_dwordx2 v[16:17], v[2:3], off sc0 sc1
	s_sendmsg sendmsg(MSG_INTERRUPT)
.LBB11_236:                             ;   in Loop: Header=BB11_2 Depth=1
	s_or_b64 exec, exec, s[12:13]
	v_mov_b32_e32 v39, v3
	v_lshl_add_u64 v[0:1], v[4:5], 0, v[38:39]
	s_branch .LBB11_240
.LBB11_237:                             ;   in Loop: Header=BB11_240 Depth=2
	s_or_b64 exec, exec, s[12:13]
	v_readfirstlane_b32 s12, v2
	s_cmp_eq_u32 s12, 0
	s_cbranch_scc1 .LBB11_239
; %bb.238:                              ;   in Loop: Header=BB11_240 Depth=2
	s_sleep 1
	s_cbranch_execnz .LBB11_240
	s_branch .LBB11_242
.LBB11_239:                             ;   in Loop: Header=BB11_2 Depth=1
	s_branch .LBB11_242
.LBB11_240:                             ;   Parent Loop BB11_2 Depth=1
                                        ; =>  This Inner Loop Header: Depth=2
	v_mov_b32_e32 v2, 1
	s_and_saveexec_b64 s[12:13], s[0:1]
	s_cbranch_execz .LBB11_237
; %bb.241:                              ;   in Loop: Header=BB11_240 Depth=2
	global_load_dword v2, v[20:21], off offset:20 sc0 sc1
	s_waitcnt vmcnt(0)
	buffer_inv sc0 sc1
	v_and_b32_e32 v2, 1, v2
	s_branch .LBB11_237
.LBB11_242:                             ;   in Loop: Header=BB11_2 Depth=1
	global_load_dwordx2 v[0:1], v[0:1], off
	s_and_saveexec_b64 s[12:13], s[0:1]
	s_cbranch_execz .LBB11_246
; %bb.243:                              ;   in Loop: Header=BB11_2 Depth=1
	global_load_dwordx2 v[4:5], v3, s[8:9] offset:40
	global_load_dwordx2 v[20:21], v3, s[8:9] offset:24 sc0 sc1
	global_load_dwordx2 v[16:17], v3, s[8:9]
	s_waitcnt vmcnt(2)
	v_readfirstlane_b32 s14, v4
	v_readfirstlane_b32 s15, v5
	s_add_u32 s16, s14, 1
	s_addc_u32 s17, s15, 0
	s_add_u32 s0, s16, s6
	s_addc_u32 s1, s17, s7
	s_cmp_eq_u64 s[0:1], 0
	s_cselect_b32 s1, s17, s1
	s_cselect_b32 s0, s16, s0
	s_and_b64 s[6:7], s[0:1], s[14:15]
	s_mul_i32 s7, s7, 24
	s_mul_hi_u32 s14, s6, 24
	s_mul_i32 s6, s6, 24
	s_add_i32 s7, s14, s7
	s_waitcnt vmcnt(0)
	v_lshl_add_u64 v[4:5], v[16:17], 0, s[6:7]
	v_mov_b32_e32 v18, s0
	global_store_dwordx2 v[4:5], v[20:21], off
	v_mov_b32_e32 v19, s1
	buffer_wbl2 sc0 sc1
	s_waitcnt vmcnt(0)
	global_atomic_cmpswap_x2 v[18:19], v3, v[18:21], s[8:9] offset:24 sc0 sc1
	s_waitcnt vmcnt(0)
	v_cmp_ne_u64_e32 vcc, v[18:19], v[20:21]
	s_and_b64 exec, exec, vcc
	s_cbranch_execz .LBB11_246
; %bb.244:                              ;   in Loop: Header=BB11_2 Depth=1
	s_mov_b64 s[6:7], 0
.LBB11_245:                             ;   Parent Loop BB11_2 Depth=1
                                        ; =>  This Inner Loop Header: Depth=2
	s_sleep 1
	global_store_dwordx2 v[4:5], v[18:19], off
	v_mov_b32_e32 v16, s0
	v_mov_b32_e32 v17, s1
	buffer_wbl2 sc0 sc1
	s_waitcnt vmcnt(0)
	global_atomic_cmpswap_x2 v[16:17], v3, v[16:19], s[8:9] offset:24 sc0 sc1
	s_waitcnt vmcnt(0)
	v_cmp_eq_u64_e32 vcc, v[16:17], v[18:19]
	s_or_b64 s[6:7], vcc, s[6:7]
	v_mov_b64_e32 v[18:19], v[16:17]
	s_andn2_b64 exec, exec, s[6:7]
	s_cbranch_execnz .LBB11_245
.LBB11_246:                             ;   in Loop: Header=BB11_2 Depth=1
	s_or_b64 exec, exec, s[12:13]
	v_readfirstlane_b32 s0, v36
	v_mov_b64_e32 v[4:5], 0
	s_nop 0
	v_cmp_eq_u32_e64 s[0:1], s0, v36
	s_and_saveexec_b64 s[6:7], s[0:1]
	s_cbranch_execz .LBB11_252
; %bb.247:                              ;   in Loop: Header=BB11_2 Depth=1
	global_load_dwordx2 v[18:19], v3, s[8:9] offset:24 sc0 sc1
	s_waitcnt vmcnt(0)
	buffer_inv sc0 sc1
	global_load_dwordx2 v[4:5], v3, s[8:9] offset:40
	global_load_dwordx2 v[16:17], v3, s[8:9]
	s_waitcnt vmcnt(1)
	v_and_b32_e32 v2, v4, v18
	v_and_b32_e32 v4, v5, v19
	v_mul_lo_u32 v4, v4, 24
	v_mul_hi_u32 v5, v2, 24
	v_add_u32_e32 v5, v5, v4
	v_mul_lo_u32 v4, v2, 24
	s_waitcnt vmcnt(0)
	v_lshl_add_u64 v[4:5], v[16:17], 0, v[4:5]
	global_load_dwordx2 v[16:17], v[4:5], off sc0 sc1
	s_waitcnt vmcnt(0)
	global_atomic_cmpswap_x2 v[4:5], v3, v[16:19], s[8:9] offset:24 sc0 sc1
	s_waitcnt vmcnt(0)
	buffer_inv sc0 sc1
	v_cmp_ne_u64_e32 vcc, v[4:5], v[18:19]
	s_and_saveexec_b64 s[12:13], vcc
	s_cbranch_execz .LBB11_251
; %bb.248:                              ;   in Loop: Header=BB11_2 Depth=1
	s_mov_b64 s[14:15], 0
.LBB11_249:                             ;   Parent Loop BB11_2 Depth=1
                                        ; =>  This Inner Loop Header: Depth=2
	s_sleep 1
	global_load_dwordx2 v[16:17], v3, s[8:9] offset:40
	global_load_dwordx2 v[20:21], v3, s[8:9]
	v_mov_b64_e32 v[18:19], v[4:5]
	s_waitcnt vmcnt(1)
	v_and_b32_e32 v2, v16, v18
	s_waitcnt vmcnt(0)
	v_mad_u64_u32 v[4:5], s[16:17], v2, 24, v[20:21]
	v_and_b32_e32 v17, v17, v19
	v_mov_b32_e32 v2, v5
	v_mad_u64_u32 v[16:17], s[16:17], v17, 24, v[2:3]
	v_mov_b32_e32 v5, v16
	global_load_dwordx2 v[16:17], v[4:5], off sc0 sc1
	s_waitcnt vmcnt(0)
	global_atomic_cmpswap_x2 v[4:5], v3, v[16:19], s[8:9] offset:24 sc0 sc1
	s_waitcnt vmcnt(0)
	buffer_inv sc0 sc1
	v_cmp_eq_u64_e32 vcc, v[4:5], v[18:19]
	s_or_b64 s[14:15], vcc, s[14:15]
	s_andn2_b64 exec, exec, s[14:15]
	s_cbranch_execnz .LBB11_249
; %bb.250:                              ;   in Loop: Header=BB11_2 Depth=1
	s_or_b64 exec, exec, s[14:15]
.LBB11_251:                             ;   in Loop: Header=BB11_2 Depth=1
	s_or_b64 exec, exec, s[12:13]
.LBB11_252:                             ;   in Loop: Header=BB11_2 Depth=1
	s_or_b64 exec, exec, s[6:7]
	global_load_dwordx2 v[20:21], v3, s[8:9] offset:40
	global_load_dwordx4 v[16:19], v3, s[8:9]
	v_readfirstlane_b32 s7, v5
	v_readfirstlane_b32 s6, v4
	s_mov_b64 s[12:13], exec
	s_waitcnt vmcnt(1)
	v_readfirstlane_b32 s14, v20
	v_readfirstlane_b32 s15, v21
	s_and_b64 s[14:15], s[14:15], s[6:7]
	s_mul_i32 s16, s15, 24
	s_mul_hi_u32 s17, s14, 24
	s_add_i32 s17, s17, s16
	s_mul_i32 s16, s14, 24
	s_waitcnt vmcnt(0)
	v_lshl_add_u64 v[20:21], v[16:17], 0, s[16:17]
	s_and_saveexec_b64 s[16:17], s[0:1]
	s_cbranch_execz .LBB11_254
; %bb.253:                              ;   in Loop: Header=BB11_2 Depth=1
	v_mov_b64_e32 v[4:5], s[12:13]
	global_store_dwordx4 v[20:21], v[4:7], off offset:8
.LBB11_254:                             ;   in Loop: Header=BB11_2 Depth=1
	s_or_b64 exec, exec, s[16:17]
	s_lshl_b64 s[12:13], s[14:15], 12
	v_lshl_add_u64 v[4:5], v[18:19], 0, s[12:13]
	v_and_or_b32 v0, v0, s5, 32
	v_mov_b32_e32 v2, v12
	v_readfirstlane_b32 s12, v4
	v_readfirstlane_b32 s13, v5
	s_nop 4
	global_store_dwordx4 v38, v[0:3], s[12:13]
	global_store_dwordx4 v38, v[44:47], s[12:13] offset:16
	global_store_dwordx4 v38, v[44:47], s[12:13] offset:32
	;; [unrolled: 1-line block ×3, first 2 shown]
	s_and_saveexec_b64 s[12:13], s[0:1]
	s_cbranch_execz .LBB11_262
; %bb.255:                              ;   in Loop: Header=BB11_2 Depth=1
	global_load_dwordx2 v[24:25], v3, s[8:9] offset:32 sc0 sc1
	global_load_dwordx2 v[0:1], v3, s[8:9] offset:40
	v_mov_b32_e32 v22, s6
	v_mov_b32_e32 v23, s7
	s_waitcnt vmcnt(0)
	v_readfirstlane_b32 s14, v0
	v_readfirstlane_b32 s15, v1
	s_and_b64 s[14:15], s[14:15], s[6:7]
	s_mul_i32 s15, s15, 24
	s_mul_hi_u32 s16, s14, 24
	s_mul_i32 s14, s14, 24
	s_add_i32 s15, s16, s15
	v_lshl_add_u64 v[0:1], v[16:17], 0, s[14:15]
	global_store_dwordx2 v[0:1], v[24:25], off
	buffer_wbl2 sc0 sc1
	s_waitcnt vmcnt(0)
	global_atomic_cmpswap_x2 v[18:19], v3, v[22:25], s[8:9] offset:32 sc0 sc1
	s_waitcnt vmcnt(0)
	v_cmp_ne_u64_e32 vcc, v[18:19], v[24:25]
	s_and_saveexec_b64 s[14:15], vcc
	s_cbranch_execz .LBB11_258
; %bb.256:                              ;   in Loop: Header=BB11_2 Depth=1
	s_mov_b64 s[16:17], 0
.LBB11_257:                             ;   Parent Loop BB11_2 Depth=1
                                        ; =>  This Inner Loop Header: Depth=2
	s_sleep 1
	global_store_dwordx2 v[0:1], v[18:19], off
	v_mov_b32_e32 v16, s6
	v_mov_b32_e32 v17, s7
	buffer_wbl2 sc0 sc1
	s_waitcnt vmcnt(0)
	global_atomic_cmpswap_x2 v[16:17], v3, v[16:19], s[8:9] offset:32 sc0 sc1
	s_waitcnt vmcnt(0)
	v_cmp_eq_u64_e32 vcc, v[16:17], v[18:19]
	s_or_b64 s[16:17], vcc, s[16:17]
	v_mov_b64_e32 v[18:19], v[16:17]
	s_andn2_b64 exec, exec, s[16:17]
	s_cbranch_execnz .LBB11_257
.LBB11_258:                             ;   in Loop: Header=BB11_2 Depth=1
	s_or_b64 exec, exec, s[14:15]
	global_load_dwordx2 v[0:1], v3, s[8:9] offset:16
	s_mov_b64 s[16:17], exec
	v_mbcnt_lo_u32_b32 v2, s16, 0
	v_mbcnt_hi_u32_b32 v2, s17, v2
	v_cmp_eq_u32_e32 vcc, 0, v2
	s_and_saveexec_b64 s[14:15], vcc
	s_cbranch_execz .LBB11_260
; %bb.259:                              ;   in Loop: Header=BB11_2 Depth=1
	s_bcnt1_i32_b64 s16, s[16:17]
	v_mov_b32_e32 v2, s16
	buffer_wbl2 sc0 sc1
	s_waitcnt vmcnt(0)
	global_atomic_add_x2 v[0:1], v[2:3], off offset:8 sc1
.LBB11_260:                             ;   in Loop: Header=BB11_2 Depth=1
	s_or_b64 exec, exec, s[14:15]
	s_waitcnt vmcnt(0)
	global_load_dwordx2 v[16:17], v[0:1], off offset:16
	s_waitcnt vmcnt(0)
	v_cmp_eq_u64_e32 vcc, 0, v[16:17]
	s_cbranch_vccnz .LBB11_262
; %bb.261:                              ;   in Loop: Header=BB11_2 Depth=1
	global_load_dword v2, v[0:1], off offset:24
	s_waitcnt vmcnt(0)
	v_readfirstlane_b32 s14, v2
	s_and_b32 m0, s14, 0xffffff
	buffer_wbl2 sc0 sc1
	global_store_dwordx2 v[16:17], v[2:3], off sc0 sc1
	s_sendmsg sendmsg(MSG_INTERRUPT)
.LBB11_262:                             ;   in Loop: Header=BB11_2 Depth=1
	s_or_b64 exec, exec, s[12:13]
	v_mov_b32_e32 v39, v3
	v_lshl_add_u64 v[0:1], v[4:5], 0, v[38:39]
	s_branch .LBB11_266
.LBB11_263:                             ;   in Loop: Header=BB11_266 Depth=2
	s_or_b64 exec, exec, s[12:13]
	v_readfirstlane_b32 s12, v2
	s_cmp_eq_u32 s12, 0
	s_cbranch_scc1 .LBB11_265
; %bb.264:                              ;   in Loop: Header=BB11_266 Depth=2
	s_sleep 1
	s_cbranch_execnz .LBB11_266
	s_branch .LBB11_268
.LBB11_265:                             ;   in Loop: Header=BB11_2 Depth=1
	s_branch .LBB11_268
.LBB11_266:                             ;   Parent Loop BB11_2 Depth=1
                                        ; =>  This Inner Loop Header: Depth=2
	v_mov_b32_e32 v2, 1
	s_and_saveexec_b64 s[12:13], s[0:1]
	s_cbranch_execz .LBB11_263
; %bb.267:                              ;   in Loop: Header=BB11_266 Depth=2
	global_load_dword v2, v[20:21], off offset:20 sc0 sc1
	s_waitcnt vmcnt(0)
	buffer_inv sc0 sc1
	v_and_b32_e32 v2, 1, v2
	s_branch .LBB11_263
.LBB11_268:                             ;   in Loop: Header=BB11_2 Depth=1
	global_load_dwordx2 v[0:1], v[0:1], off
	s_and_saveexec_b64 s[12:13], s[0:1]
	s_cbranch_execz .LBB11_272
; %bb.269:                              ;   in Loop: Header=BB11_2 Depth=1
	global_load_dwordx2 v[4:5], v3, s[8:9] offset:40
	global_load_dwordx2 v[20:21], v3, s[8:9] offset:24 sc0 sc1
	global_load_dwordx2 v[16:17], v3, s[8:9]
	s_waitcnt vmcnt(2)
	v_readfirstlane_b32 s14, v4
	v_readfirstlane_b32 s15, v5
	s_add_u32 s16, s14, 1
	s_addc_u32 s17, s15, 0
	s_add_u32 s0, s16, s6
	s_addc_u32 s1, s17, s7
	s_cmp_eq_u64 s[0:1], 0
	s_cselect_b32 s1, s17, s1
	s_cselect_b32 s0, s16, s0
	s_and_b64 s[6:7], s[0:1], s[14:15]
	s_mul_i32 s7, s7, 24
	s_mul_hi_u32 s14, s6, 24
	s_mul_i32 s6, s6, 24
	s_add_i32 s7, s14, s7
	s_waitcnt vmcnt(0)
	v_lshl_add_u64 v[4:5], v[16:17], 0, s[6:7]
	v_mov_b32_e32 v18, s0
	global_store_dwordx2 v[4:5], v[20:21], off
	v_mov_b32_e32 v19, s1
	buffer_wbl2 sc0 sc1
	s_waitcnt vmcnt(0)
	global_atomic_cmpswap_x2 v[18:19], v3, v[18:21], s[8:9] offset:24 sc0 sc1
	s_waitcnt vmcnt(0)
	v_cmp_ne_u64_e32 vcc, v[18:19], v[20:21]
	s_and_b64 exec, exec, vcc
	s_cbranch_execz .LBB11_272
; %bb.270:                              ;   in Loop: Header=BB11_2 Depth=1
	s_mov_b64 s[6:7], 0
.LBB11_271:                             ;   Parent Loop BB11_2 Depth=1
                                        ; =>  This Inner Loop Header: Depth=2
	s_sleep 1
	global_store_dwordx2 v[4:5], v[18:19], off
	v_mov_b32_e32 v16, s0
	v_mov_b32_e32 v17, s1
	buffer_wbl2 sc0 sc1
	s_waitcnt vmcnt(0)
	global_atomic_cmpswap_x2 v[16:17], v3, v[16:19], s[8:9] offset:24 sc0 sc1
	s_waitcnt vmcnt(0)
	v_cmp_eq_u64_e32 vcc, v[16:17], v[18:19]
	s_or_b64 s[6:7], vcc, s[6:7]
	v_mov_b64_e32 v[18:19], v[16:17]
	s_andn2_b64 exec, exec, s[6:7]
	s_cbranch_execnz .LBB11_271
.LBB11_272:                             ;   in Loop: Header=BB11_2 Depth=1
	s_or_b64 exec, exec, s[12:13]
	v_readfirstlane_b32 s0, v36
	v_mov_b64_e32 v[4:5], 0
	s_nop 0
	v_cmp_eq_u32_e64 s[0:1], s0, v36
	s_and_saveexec_b64 s[6:7], s[0:1]
	s_cbranch_execz .LBB11_278
; %bb.273:                              ;   in Loop: Header=BB11_2 Depth=1
	global_load_dwordx2 v[18:19], v3, s[8:9] offset:24 sc0 sc1
	s_waitcnt vmcnt(0)
	buffer_inv sc0 sc1
	global_load_dwordx2 v[4:5], v3, s[8:9] offset:40
	global_load_dwordx2 v[16:17], v3, s[8:9]
	s_waitcnt vmcnt(1)
	v_and_b32_e32 v2, v4, v18
	v_and_b32_e32 v4, v5, v19
	v_mul_lo_u32 v4, v4, 24
	v_mul_hi_u32 v5, v2, 24
	v_add_u32_e32 v5, v5, v4
	v_mul_lo_u32 v4, v2, 24
	s_waitcnt vmcnt(0)
	v_lshl_add_u64 v[4:5], v[16:17], 0, v[4:5]
	global_load_dwordx2 v[16:17], v[4:5], off sc0 sc1
	s_waitcnt vmcnt(0)
	global_atomic_cmpswap_x2 v[4:5], v3, v[16:19], s[8:9] offset:24 sc0 sc1
	s_waitcnt vmcnt(0)
	buffer_inv sc0 sc1
	v_cmp_ne_u64_e32 vcc, v[4:5], v[18:19]
	s_and_saveexec_b64 s[12:13], vcc
	s_cbranch_execz .LBB11_277
; %bb.274:                              ;   in Loop: Header=BB11_2 Depth=1
	s_mov_b64 s[14:15], 0
.LBB11_275:                             ;   Parent Loop BB11_2 Depth=1
                                        ; =>  This Inner Loop Header: Depth=2
	s_sleep 1
	global_load_dwordx2 v[16:17], v3, s[8:9] offset:40
	global_load_dwordx2 v[20:21], v3, s[8:9]
	v_mov_b64_e32 v[18:19], v[4:5]
	s_waitcnt vmcnt(1)
	v_and_b32_e32 v2, v16, v18
	s_waitcnt vmcnt(0)
	v_mad_u64_u32 v[4:5], s[16:17], v2, 24, v[20:21]
	v_and_b32_e32 v12, v17, v19
	v_mov_b32_e32 v2, v5
	v_mad_u64_u32 v[16:17], s[16:17], v12, 24, v[2:3]
	v_mov_b32_e32 v5, v16
	global_load_dwordx2 v[16:17], v[4:5], off sc0 sc1
	s_waitcnt vmcnt(0)
	global_atomic_cmpswap_x2 v[4:5], v3, v[16:19], s[8:9] offset:24 sc0 sc1
	s_waitcnt vmcnt(0)
	buffer_inv sc0 sc1
	v_cmp_eq_u64_e32 vcc, v[4:5], v[18:19]
	s_or_b64 s[14:15], vcc, s[14:15]
	s_andn2_b64 exec, exec, s[14:15]
	s_cbranch_execnz .LBB11_275
; %bb.276:                              ;   in Loop: Header=BB11_2 Depth=1
	s_or_b64 exec, exec, s[14:15]
.LBB11_277:                             ;   in Loop: Header=BB11_2 Depth=1
	s_or_b64 exec, exec, s[12:13]
.LBB11_278:                             ;   in Loop: Header=BB11_2 Depth=1
	s_or_b64 exec, exec, s[6:7]
	global_load_dwordx2 v[20:21], v3, s[8:9] offset:40
	global_load_dwordx4 v[16:19], v3, s[8:9]
	v_readfirstlane_b32 s7, v5
	v_readfirstlane_b32 s6, v4
	s_mov_b64 s[12:13], exec
	s_waitcnt vmcnt(1)
	v_readfirstlane_b32 s14, v20
	v_readfirstlane_b32 s15, v21
	s_and_b64 s[14:15], s[14:15], s[6:7]
	s_mul_i32 s16, s15, 24
	s_mul_hi_u32 s17, s14, 24
	s_add_i32 s17, s17, s16
	s_mul_i32 s16, s14, 24
	s_waitcnt vmcnt(0)
	v_lshl_add_u64 v[20:21], v[16:17], 0, s[16:17]
	s_and_saveexec_b64 s[16:17], s[0:1]
	s_cbranch_execz .LBB11_280
; %bb.279:                              ;   in Loop: Header=BB11_2 Depth=1
	v_mov_b64_e32 v[4:5], s[12:13]
	global_store_dwordx4 v[20:21], v[4:7], off offset:8
.LBB11_280:                             ;   in Loop: Header=BB11_2 Depth=1
	s_or_b64 exec, exec, s[16:17]
	s_lshl_b64 s[12:13], s[14:15], 12
	v_lshl_add_u64 v[4:5], v[18:19], 0, s[12:13]
	v_and_or_b32 v0, v0, s5, 32
	v_mov_b32_e32 v2, v13
	v_readfirstlane_b32 s12, v4
	v_readfirstlane_b32 s13, v5
	s_nop 4
	global_store_dwordx4 v38, v[0:3], s[12:13]
	global_store_dwordx4 v38, v[44:47], s[12:13] offset:16
	global_store_dwordx4 v38, v[44:47], s[12:13] offset:32
	global_store_dwordx4 v38, v[44:47], s[12:13] offset:48
	s_and_saveexec_b64 s[12:13], s[0:1]
	s_cbranch_execz .LBB11_288
; %bb.281:                              ;   in Loop: Header=BB11_2 Depth=1
	global_load_dwordx2 v[24:25], v3, s[8:9] offset:32 sc0 sc1
	global_load_dwordx2 v[0:1], v3, s[8:9] offset:40
	v_mov_b32_e32 v22, s6
	v_mov_b32_e32 v23, s7
	s_waitcnt vmcnt(0)
	v_readfirstlane_b32 s14, v0
	v_readfirstlane_b32 s15, v1
	s_and_b64 s[14:15], s[14:15], s[6:7]
	s_mul_i32 s15, s15, 24
	s_mul_hi_u32 s16, s14, 24
	s_mul_i32 s14, s14, 24
	s_add_i32 s15, s16, s15
	v_lshl_add_u64 v[0:1], v[16:17], 0, s[14:15]
	global_store_dwordx2 v[0:1], v[24:25], off
	buffer_wbl2 sc0 sc1
	s_waitcnt vmcnt(0)
	global_atomic_cmpswap_x2 v[18:19], v3, v[22:25], s[8:9] offset:32 sc0 sc1
	s_waitcnt vmcnt(0)
	v_cmp_ne_u64_e32 vcc, v[18:19], v[24:25]
	s_and_saveexec_b64 s[14:15], vcc
	s_cbranch_execz .LBB11_284
; %bb.282:                              ;   in Loop: Header=BB11_2 Depth=1
	s_mov_b64 s[16:17], 0
.LBB11_283:                             ;   Parent Loop BB11_2 Depth=1
                                        ; =>  This Inner Loop Header: Depth=2
	s_sleep 1
	global_store_dwordx2 v[0:1], v[18:19], off
	v_mov_b32_e32 v16, s6
	v_mov_b32_e32 v17, s7
	buffer_wbl2 sc0 sc1
	s_waitcnt vmcnt(0)
	global_atomic_cmpswap_x2 v[12:13], v3, v[16:19], s[8:9] offset:32 sc0 sc1
	s_waitcnt vmcnt(0)
	v_cmp_eq_u64_e32 vcc, v[12:13], v[18:19]
	s_or_b64 s[16:17], vcc, s[16:17]
	v_mov_b64_e32 v[18:19], v[12:13]
	s_andn2_b64 exec, exec, s[16:17]
	s_cbranch_execnz .LBB11_283
.LBB11_284:                             ;   in Loop: Header=BB11_2 Depth=1
	s_or_b64 exec, exec, s[14:15]
	global_load_dwordx2 v[0:1], v3, s[8:9] offset:16
	s_mov_b64 s[16:17], exec
	v_mbcnt_lo_u32_b32 v2, s16, 0
	v_mbcnt_hi_u32_b32 v2, s17, v2
	v_cmp_eq_u32_e32 vcc, 0, v2
	s_and_saveexec_b64 s[14:15], vcc
	s_cbranch_execz .LBB11_286
; %bb.285:                              ;   in Loop: Header=BB11_2 Depth=1
	s_bcnt1_i32_b64 s16, s[16:17]
	v_mov_b32_e32 v2, s16
	buffer_wbl2 sc0 sc1
	s_waitcnt vmcnt(0)
	global_atomic_add_x2 v[0:1], v[2:3], off offset:8 sc1
.LBB11_286:                             ;   in Loop: Header=BB11_2 Depth=1
	s_or_b64 exec, exec, s[14:15]
	s_waitcnt vmcnt(0)
	global_load_dwordx2 v[12:13], v[0:1], off offset:16
	s_waitcnt vmcnt(0)
	v_cmp_eq_u64_e32 vcc, 0, v[12:13]
	s_cbranch_vccnz .LBB11_288
; %bb.287:                              ;   in Loop: Header=BB11_2 Depth=1
	global_load_dword v2, v[0:1], off offset:24
	s_waitcnt vmcnt(0)
	v_readfirstlane_b32 s14, v2
	s_and_b32 m0, s14, 0xffffff
	buffer_wbl2 sc0 sc1
	global_store_dwordx2 v[12:13], v[2:3], off sc0 sc1
	s_sendmsg sendmsg(MSG_INTERRUPT)
.LBB11_288:                             ;   in Loop: Header=BB11_2 Depth=1
	s_or_b64 exec, exec, s[12:13]
	v_mov_b32_e32 v39, v3
	v_lshl_add_u64 v[0:1], v[4:5], 0, v[38:39]
	s_branch .LBB11_292
.LBB11_289:                             ;   in Loop: Header=BB11_292 Depth=2
	s_or_b64 exec, exec, s[12:13]
	v_readfirstlane_b32 s12, v2
	s_cmp_eq_u32 s12, 0
	s_cbranch_scc1 .LBB11_291
; %bb.290:                              ;   in Loop: Header=BB11_292 Depth=2
	s_sleep 1
	s_cbranch_execnz .LBB11_292
	s_branch .LBB11_294
.LBB11_291:                             ;   in Loop: Header=BB11_2 Depth=1
	s_branch .LBB11_294
.LBB11_292:                             ;   Parent Loop BB11_2 Depth=1
                                        ; =>  This Inner Loop Header: Depth=2
	v_mov_b32_e32 v2, 1
	s_and_saveexec_b64 s[12:13], s[0:1]
	s_cbranch_execz .LBB11_289
; %bb.293:                              ;   in Loop: Header=BB11_292 Depth=2
	global_load_dword v2, v[20:21], off offset:20 sc0 sc1
	s_waitcnt vmcnt(0)
	buffer_inv sc0 sc1
	v_and_b32_e32 v2, 1, v2
	s_branch .LBB11_289
.LBB11_294:                             ;   in Loop: Header=BB11_2 Depth=1
	global_load_dwordx2 v[0:1], v[0:1], off
	s_and_saveexec_b64 s[12:13], s[0:1]
	s_cbranch_execz .LBB11_298
; %bb.295:                              ;   in Loop: Header=BB11_2 Depth=1
	global_load_dwordx2 v[4:5], v3, s[8:9] offset:40
	global_load_dwordx2 v[20:21], v3, s[8:9] offset:24 sc0 sc1
	global_load_dwordx2 v[12:13], v3, s[8:9]
	s_waitcnt vmcnt(2)
	v_readfirstlane_b32 s14, v4
	v_readfirstlane_b32 s15, v5
	s_add_u32 s16, s14, 1
	s_addc_u32 s17, s15, 0
	s_add_u32 s0, s16, s6
	s_addc_u32 s1, s17, s7
	s_cmp_eq_u64 s[0:1], 0
	s_cselect_b32 s1, s17, s1
	s_cselect_b32 s0, s16, s0
	s_and_b64 s[6:7], s[0:1], s[14:15]
	s_mul_i32 s7, s7, 24
	s_mul_hi_u32 s14, s6, 24
	s_mul_i32 s6, s6, 24
	s_add_i32 s7, s14, s7
	s_waitcnt vmcnt(0)
	v_lshl_add_u64 v[4:5], v[12:13], 0, s[6:7]
	v_mov_b32_e32 v18, s0
	global_store_dwordx2 v[4:5], v[20:21], off
	v_mov_b32_e32 v19, s1
	buffer_wbl2 sc0 sc1
	s_waitcnt vmcnt(0)
	global_atomic_cmpswap_x2 v[18:19], v3, v[18:21], s[8:9] offset:24 sc0 sc1
	s_waitcnt vmcnt(0)
	v_cmp_ne_u64_e32 vcc, v[18:19], v[20:21]
	s_and_b64 exec, exec, vcc
	s_cbranch_execz .LBB11_298
; %bb.296:                              ;   in Loop: Header=BB11_2 Depth=1
	s_mov_b64 s[6:7], 0
.LBB11_297:                             ;   Parent Loop BB11_2 Depth=1
                                        ; =>  This Inner Loop Header: Depth=2
	s_sleep 1
	global_store_dwordx2 v[4:5], v[18:19], off
	v_mov_b32_e32 v16, s0
	v_mov_b32_e32 v17, s1
	buffer_wbl2 sc0 sc1
	s_waitcnt vmcnt(0)
	global_atomic_cmpswap_x2 v[12:13], v3, v[16:19], s[8:9] offset:24 sc0 sc1
	s_waitcnt vmcnt(0)
	v_cmp_eq_u64_e32 vcc, v[12:13], v[18:19]
	s_or_b64 s[6:7], vcc, s[6:7]
	v_mov_b64_e32 v[18:19], v[12:13]
	s_andn2_b64 exec, exec, s[6:7]
	s_cbranch_execnz .LBB11_297
.LBB11_298:                             ;   in Loop: Header=BB11_2 Depth=1
	s_or_b64 exec, exec, s[12:13]
	v_readfirstlane_b32 s0, v36
	v_mov_b64_e32 v[4:5], 0
	s_nop 0
	v_cmp_eq_u32_e64 s[0:1], s0, v36
	s_and_saveexec_b64 s[6:7], s[0:1]
	s_cbranch_execz .LBB11_304
; %bb.299:                              ;   in Loop: Header=BB11_2 Depth=1
	global_load_dwordx2 v[18:19], v3, s[8:9] offset:24 sc0 sc1
	s_waitcnt vmcnt(0)
	buffer_inv sc0 sc1
	global_load_dwordx2 v[4:5], v3, s[8:9] offset:40
	global_load_dwordx2 v[12:13], v3, s[8:9]
	s_waitcnt vmcnt(1)
	v_and_b32_e32 v2, v4, v18
	v_and_b32_e32 v4, v5, v19
	v_mul_lo_u32 v4, v4, 24
	v_mul_hi_u32 v5, v2, 24
	v_add_u32_e32 v5, v5, v4
	v_mul_lo_u32 v4, v2, 24
	s_waitcnt vmcnt(0)
	v_lshl_add_u64 v[4:5], v[12:13], 0, v[4:5]
	global_load_dwordx2 v[16:17], v[4:5], off sc0 sc1
	s_waitcnt vmcnt(0)
	global_atomic_cmpswap_x2 v[4:5], v3, v[16:19], s[8:9] offset:24 sc0 sc1
	s_waitcnt vmcnt(0)
	buffer_inv sc0 sc1
	v_cmp_ne_u64_e32 vcc, v[4:5], v[18:19]
	s_and_saveexec_b64 s[12:13], vcc
	s_cbranch_execz .LBB11_303
; %bb.300:                              ;   in Loop: Header=BB11_2 Depth=1
	s_mov_b64 s[14:15], 0
.LBB11_301:                             ;   Parent Loop BB11_2 Depth=1
                                        ; =>  This Inner Loop Header: Depth=2
	s_sleep 1
	global_load_dwordx2 v[12:13], v3, s[8:9] offset:40
	global_load_dwordx2 v[16:17], v3, s[8:9]
	v_mov_b64_e32 v[18:19], v[4:5]
	s_waitcnt vmcnt(1)
	v_and_b32_e32 v2, v12, v18
	s_waitcnt vmcnt(0)
	v_mad_u64_u32 v[4:5], s[16:17], v2, 24, v[16:17]
	v_and_b32_e32 v13, v13, v19
	v_mov_b32_e32 v2, v5
	v_mad_u64_u32 v[12:13], s[16:17], v13, 24, v[2:3]
	v_mov_b32_e32 v5, v12
	global_load_dwordx2 v[16:17], v[4:5], off sc0 sc1
	s_waitcnt vmcnt(0)
	global_atomic_cmpswap_x2 v[4:5], v3, v[16:19], s[8:9] offset:24 sc0 sc1
	s_waitcnt vmcnt(0)
	buffer_inv sc0 sc1
	v_cmp_eq_u64_e32 vcc, v[4:5], v[18:19]
	s_or_b64 s[14:15], vcc, s[14:15]
	s_andn2_b64 exec, exec, s[14:15]
	s_cbranch_execnz .LBB11_301
; %bb.302:                              ;   in Loop: Header=BB11_2 Depth=1
	s_or_b64 exec, exec, s[14:15]
.LBB11_303:                             ;   in Loop: Header=BB11_2 Depth=1
	s_or_b64 exec, exec, s[12:13]
.LBB11_304:                             ;   in Loop: Header=BB11_2 Depth=1
	s_or_b64 exec, exec, s[6:7]
	global_load_dwordx2 v[12:13], v3, s[8:9] offset:40
	global_load_dwordx4 v[16:19], v3, s[8:9]
	v_readfirstlane_b32 s7, v5
	v_readfirstlane_b32 s6, v4
	s_mov_b64 s[12:13], exec
	s_waitcnt vmcnt(1)
	v_readfirstlane_b32 s14, v12
	v_readfirstlane_b32 s15, v13
	s_and_b64 s[14:15], s[14:15], s[6:7]
	s_mul_i32 s16, s15, 24
	s_mul_hi_u32 s17, s14, 24
	s_add_i32 s17, s17, s16
	s_mul_i32 s16, s14, 24
	s_waitcnt vmcnt(0)
	v_lshl_add_u64 v[12:13], v[16:17], 0, s[16:17]
	s_and_saveexec_b64 s[16:17], s[0:1]
	s_cbranch_execz .LBB11_306
; %bb.305:                              ;   in Loop: Header=BB11_2 Depth=1
	v_mov_b64_e32 v[4:5], s[12:13]
	global_store_dwordx4 v[12:13], v[4:7], off offset:8
.LBB11_306:                             ;   in Loop: Header=BB11_2 Depth=1
	s_or_b64 exec, exec, s[16:17]
	s_lshl_b64 s[12:13], s[14:15], 12
	v_lshl_add_u64 v[4:5], v[18:19], 0, s[12:13]
	v_and_or_b32 v0, v0, s5, 32
	v_mov_b32_e32 v2, v14
	v_readfirstlane_b32 s12, v4
	v_readfirstlane_b32 s13, v5
	s_nop 4
	global_store_dwordx4 v38, v[0:3], s[12:13]
	global_store_dwordx4 v38, v[44:47], s[12:13] offset:16
	global_store_dwordx4 v38, v[44:47], s[12:13] offset:32
	global_store_dwordx4 v38, v[44:47], s[12:13] offset:48
	s_and_saveexec_b64 s[12:13], s[0:1]
	s_cbranch_execz .LBB11_314
; %bb.307:                              ;   in Loop: Header=BB11_2 Depth=1
	global_load_dwordx2 v[20:21], v3, s[8:9] offset:32 sc0 sc1
	global_load_dwordx2 v[0:1], v3, s[8:9] offset:40
	v_mov_b32_e32 v18, s6
	v_mov_b32_e32 v19, s7
	s_waitcnt vmcnt(0)
	v_readfirstlane_b32 s14, v0
	v_readfirstlane_b32 s15, v1
	s_and_b64 s[14:15], s[14:15], s[6:7]
	s_mul_i32 s15, s15, 24
	s_mul_hi_u32 s16, s14, 24
	s_mul_i32 s14, s14, 24
	s_add_i32 s15, s16, s15
	v_lshl_add_u64 v[0:1], v[16:17], 0, s[14:15]
	global_store_dwordx2 v[0:1], v[20:21], off
	buffer_wbl2 sc0 sc1
	s_waitcnt vmcnt(0)
	global_atomic_cmpswap_x2 v[18:19], v3, v[18:21], s[8:9] offset:32 sc0 sc1
	s_waitcnt vmcnt(0)
	v_cmp_ne_u64_e32 vcc, v[18:19], v[20:21]
	s_and_saveexec_b64 s[14:15], vcc
	s_cbranch_execz .LBB11_310
; %bb.308:                              ;   in Loop: Header=BB11_2 Depth=1
	s_mov_b64 s[16:17], 0
.LBB11_309:                             ;   Parent Loop BB11_2 Depth=1
                                        ; =>  This Inner Loop Header: Depth=2
	s_sleep 1
	global_store_dwordx2 v[0:1], v[18:19], off
	v_mov_b32_e32 v16, s6
	v_mov_b32_e32 v17, s7
	buffer_wbl2 sc0 sc1
	s_waitcnt vmcnt(0)
	global_atomic_cmpswap_x2 v[16:17], v3, v[16:19], s[8:9] offset:32 sc0 sc1
	s_waitcnt vmcnt(0)
	v_cmp_eq_u64_e32 vcc, v[16:17], v[18:19]
	s_or_b64 s[16:17], vcc, s[16:17]
	v_mov_b64_e32 v[18:19], v[16:17]
	s_andn2_b64 exec, exec, s[16:17]
	s_cbranch_execnz .LBB11_309
.LBB11_310:                             ;   in Loop: Header=BB11_2 Depth=1
	s_or_b64 exec, exec, s[14:15]
	global_load_dwordx2 v[0:1], v3, s[8:9] offset:16
	s_mov_b64 s[16:17], exec
	v_mbcnt_lo_u32_b32 v2, s16, 0
	v_mbcnt_hi_u32_b32 v2, s17, v2
	v_cmp_eq_u32_e32 vcc, 0, v2
	s_and_saveexec_b64 s[14:15], vcc
	s_cbranch_execz .LBB11_312
; %bb.311:                              ;   in Loop: Header=BB11_2 Depth=1
	s_bcnt1_i32_b64 s16, s[16:17]
	v_mov_b32_e32 v2, s16
	buffer_wbl2 sc0 sc1
	s_waitcnt vmcnt(0)
	global_atomic_add_x2 v[0:1], v[2:3], off offset:8 sc1
.LBB11_312:                             ;   in Loop: Header=BB11_2 Depth=1
	s_or_b64 exec, exec, s[14:15]
	s_waitcnt vmcnt(0)
	global_load_dwordx2 v[16:17], v[0:1], off offset:16
	s_waitcnt vmcnt(0)
	v_cmp_eq_u64_e32 vcc, 0, v[16:17]
	s_cbranch_vccnz .LBB11_314
; %bb.313:                              ;   in Loop: Header=BB11_2 Depth=1
	global_load_dword v2, v[0:1], off offset:24
	s_waitcnt vmcnt(0)
	v_readfirstlane_b32 s14, v2
	s_and_b32 m0, s14, 0xffffff
	buffer_wbl2 sc0 sc1
	global_store_dwordx2 v[16:17], v[2:3], off sc0 sc1
	s_sendmsg sendmsg(MSG_INTERRUPT)
.LBB11_314:                             ;   in Loop: Header=BB11_2 Depth=1
	s_or_b64 exec, exec, s[12:13]
	v_mov_b32_e32 v39, v3
	v_lshl_add_u64 v[0:1], v[4:5], 0, v[38:39]
	s_branch .LBB11_318
.LBB11_315:                             ;   in Loop: Header=BB11_318 Depth=2
	s_or_b64 exec, exec, s[12:13]
	v_readfirstlane_b32 s12, v2
	s_cmp_eq_u32 s12, 0
	s_cbranch_scc1 .LBB11_317
; %bb.316:                              ;   in Loop: Header=BB11_318 Depth=2
	s_sleep 1
	s_cbranch_execnz .LBB11_318
	s_branch .LBB11_320
.LBB11_317:                             ;   in Loop: Header=BB11_2 Depth=1
	s_branch .LBB11_320
.LBB11_318:                             ;   Parent Loop BB11_2 Depth=1
                                        ; =>  This Inner Loop Header: Depth=2
	v_mov_b32_e32 v2, 1
	s_and_saveexec_b64 s[12:13], s[0:1]
	s_cbranch_execz .LBB11_315
; %bb.319:                              ;   in Loop: Header=BB11_318 Depth=2
	global_load_dword v2, v[12:13], off offset:20 sc0 sc1
	s_waitcnt vmcnt(0)
	buffer_inv sc0 sc1
	v_and_b32_e32 v2, 1, v2
	s_branch .LBB11_315
.LBB11_320:                             ;   in Loop: Header=BB11_2 Depth=1
	global_load_dwordx2 v[0:1], v[0:1], off
	s_and_saveexec_b64 s[12:13], s[0:1]
	s_cbranch_execz .LBB11_324
; %bb.321:                              ;   in Loop: Header=BB11_2 Depth=1
	global_load_dwordx2 v[4:5], v3, s[8:9] offset:40
	global_load_dwordx2 v[20:21], v3, s[8:9] offset:24 sc0 sc1
	global_load_dwordx2 v[12:13], v3, s[8:9]
	s_waitcnt vmcnt(2)
	v_readfirstlane_b32 s14, v4
	v_readfirstlane_b32 s15, v5
	s_add_u32 s16, s14, 1
	s_addc_u32 s17, s15, 0
	s_add_u32 s0, s16, s6
	s_addc_u32 s1, s17, s7
	s_cmp_eq_u64 s[0:1], 0
	s_cselect_b32 s1, s17, s1
	s_cselect_b32 s0, s16, s0
	s_and_b64 s[6:7], s[0:1], s[14:15]
	s_mul_i32 s7, s7, 24
	s_mul_hi_u32 s14, s6, 24
	s_mul_i32 s6, s6, 24
	s_add_i32 s7, s14, s7
	s_waitcnt vmcnt(0)
	v_lshl_add_u64 v[4:5], v[12:13], 0, s[6:7]
	v_mov_b32_e32 v18, s0
	global_store_dwordx2 v[4:5], v[20:21], off
	v_mov_b32_e32 v19, s1
	buffer_wbl2 sc0 sc1
	s_waitcnt vmcnt(0)
	global_atomic_cmpswap_x2 v[18:19], v3, v[18:21], s[8:9] offset:24 sc0 sc1
	s_waitcnt vmcnt(0)
	v_cmp_ne_u64_e32 vcc, v[18:19], v[20:21]
	s_and_b64 exec, exec, vcc
	s_cbranch_execz .LBB11_324
; %bb.322:                              ;   in Loop: Header=BB11_2 Depth=1
	s_mov_b64 s[6:7], 0
.LBB11_323:                             ;   Parent Loop BB11_2 Depth=1
                                        ; =>  This Inner Loop Header: Depth=2
	s_sleep 1
	global_store_dwordx2 v[4:5], v[18:19], off
	v_mov_b32_e32 v16, s0
	v_mov_b32_e32 v17, s1
	buffer_wbl2 sc0 sc1
	s_waitcnt vmcnt(0)
	global_atomic_cmpswap_x2 v[12:13], v3, v[16:19], s[8:9] offset:24 sc0 sc1
	s_waitcnt vmcnt(0)
	v_cmp_eq_u64_e32 vcc, v[12:13], v[18:19]
	s_or_b64 s[6:7], vcc, s[6:7]
	v_mov_b64_e32 v[18:19], v[12:13]
	s_andn2_b64 exec, exec, s[6:7]
	s_cbranch_execnz .LBB11_323
.LBB11_324:                             ;   in Loop: Header=BB11_2 Depth=1
	s_or_b64 exec, exec, s[12:13]
	v_readfirstlane_b32 s0, v36
	v_mov_b64_e32 v[4:5], 0
	s_nop 0
	v_cmp_eq_u32_e64 s[0:1], s0, v36
	s_and_saveexec_b64 s[6:7], s[0:1]
	s_cbranch_execz .LBB11_330
; %bb.325:                              ;   in Loop: Header=BB11_2 Depth=1
	global_load_dwordx2 v[18:19], v3, s[8:9] offset:24 sc0 sc1
	s_waitcnt vmcnt(0)
	buffer_inv sc0 sc1
	global_load_dwordx2 v[4:5], v3, s[8:9] offset:40
	global_load_dwordx2 v[12:13], v3, s[8:9]
	s_waitcnt vmcnt(1)
	v_and_b32_e32 v2, v4, v18
	v_and_b32_e32 v4, v5, v19
	v_mul_lo_u32 v4, v4, 24
	v_mul_hi_u32 v5, v2, 24
	v_add_u32_e32 v5, v5, v4
	v_mul_lo_u32 v4, v2, 24
	s_waitcnt vmcnt(0)
	v_lshl_add_u64 v[4:5], v[12:13], 0, v[4:5]
	global_load_dwordx2 v[16:17], v[4:5], off sc0 sc1
	s_waitcnt vmcnt(0)
	global_atomic_cmpswap_x2 v[4:5], v3, v[16:19], s[8:9] offset:24 sc0 sc1
	s_waitcnt vmcnt(0)
	buffer_inv sc0 sc1
	v_cmp_ne_u64_e32 vcc, v[4:5], v[18:19]
	s_and_saveexec_b64 s[12:13], vcc
	s_cbranch_execz .LBB11_329
; %bb.326:                              ;   in Loop: Header=BB11_2 Depth=1
	s_mov_b64 s[14:15], 0
.LBB11_327:                             ;   Parent Loop BB11_2 Depth=1
                                        ; =>  This Inner Loop Header: Depth=2
	s_sleep 1
	global_load_dwordx2 v[12:13], v3, s[8:9] offset:40
	global_load_dwordx2 v[16:17], v3, s[8:9]
	v_mov_b64_e32 v[18:19], v[4:5]
	s_waitcnt vmcnt(1)
	v_and_b32_e32 v2, v12, v18
	s_waitcnt vmcnt(0)
	v_mad_u64_u32 v[4:5], s[16:17], v2, 24, v[16:17]
	v_and_b32_e32 v13, v13, v19
	v_mov_b32_e32 v2, v5
	v_mad_u64_u32 v[12:13], s[16:17], v13, 24, v[2:3]
	v_mov_b32_e32 v5, v12
	global_load_dwordx2 v[16:17], v[4:5], off sc0 sc1
	s_waitcnt vmcnt(0)
	global_atomic_cmpswap_x2 v[4:5], v3, v[16:19], s[8:9] offset:24 sc0 sc1
	s_waitcnt vmcnt(0)
	buffer_inv sc0 sc1
	v_cmp_eq_u64_e32 vcc, v[4:5], v[18:19]
	s_or_b64 s[14:15], vcc, s[14:15]
	s_andn2_b64 exec, exec, s[14:15]
	s_cbranch_execnz .LBB11_327
; %bb.328:                              ;   in Loop: Header=BB11_2 Depth=1
	s_or_b64 exec, exec, s[14:15]
.LBB11_329:                             ;   in Loop: Header=BB11_2 Depth=1
	s_or_b64 exec, exec, s[12:13]
.LBB11_330:                             ;   in Loop: Header=BB11_2 Depth=1
	s_or_b64 exec, exec, s[6:7]
	global_load_dwordx2 v[12:13], v3, s[8:9] offset:40
	global_load_dwordx4 v[16:19], v3, s[8:9]
	v_readfirstlane_b32 s7, v5
	v_readfirstlane_b32 s6, v4
	s_mov_b64 s[12:13], exec
	s_waitcnt vmcnt(1)
	v_readfirstlane_b32 s14, v12
	v_readfirstlane_b32 s15, v13
	s_and_b64 s[14:15], s[14:15], s[6:7]
	s_mul_i32 s16, s15, 24
	s_mul_hi_u32 s17, s14, 24
	s_add_i32 s17, s17, s16
	s_mul_i32 s16, s14, 24
	s_waitcnt vmcnt(0)
	v_lshl_add_u64 v[20:21], v[16:17], 0, s[16:17]
	s_and_saveexec_b64 s[16:17], s[0:1]
	s_cbranch_execz .LBB11_332
; %bb.331:                              ;   in Loop: Header=BB11_2 Depth=1
	v_mov_b64_e32 v[4:5], s[12:13]
	global_store_dwordx4 v[20:21], v[4:7], off offset:8
.LBB11_332:                             ;   in Loop: Header=BB11_2 Depth=1
	s_or_b64 exec, exec, s[16:17]
	s_lshl_b64 s[12:13], s[14:15], 12
	v_lshl_add_u64 v[4:5], v[18:19], 0, s[12:13]
	v_and_or_b32 v0, v0, s25, 34
	v_mov_b32_e32 v2, v15
	v_readfirstlane_b32 s12, v4
	v_readfirstlane_b32 s13, v5
	s_nop 4
	global_store_dwordx4 v38, v[0:3], s[12:13]
	global_store_dwordx4 v38, v[44:47], s[12:13] offset:16
	global_store_dwordx4 v38, v[44:47], s[12:13] offset:32
	;; [unrolled: 1-line block ×3, first 2 shown]
	s_and_saveexec_b64 s[12:13], s[0:1]
	s_cbranch_execz .LBB11_340
; %bb.333:                              ;   in Loop: Header=BB11_2 Depth=1
	global_load_dwordx2 v[24:25], v3, s[8:9] offset:32 sc0 sc1
	global_load_dwordx2 v[0:1], v3, s[8:9] offset:40
	v_mov_b32_e32 v22, s6
	v_mov_b32_e32 v23, s7
	s_waitcnt vmcnt(0)
	v_readfirstlane_b32 s14, v0
	v_readfirstlane_b32 s15, v1
	s_and_b64 s[14:15], s[14:15], s[6:7]
	s_mul_i32 s15, s15, 24
	s_mul_hi_u32 s16, s14, 24
	s_mul_i32 s14, s14, 24
	s_add_i32 s15, s16, s15
	v_lshl_add_u64 v[0:1], v[16:17], 0, s[14:15]
	global_store_dwordx2 v[0:1], v[24:25], off
	buffer_wbl2 sc0 sc1
	s_waitcnt vmcnt(0)
	global_atomic_cmpswap_x2 v[14:15], v3, v[22:25], s[8:9] offset:32 sc0 sc1
	s_waitcnt vmcnt(0)
	v_cmp_ne_u64_e32 vcc, v[14:15], v[24:25]
	s_and_saveexec_b64 s[14:15], vcc
	s_cbranch_execz .LBB11_336
; %bb.334:                              ;   in Loop: Header=BB11_2 Depth=1
	s_mov_b64 s[16:17], 0
.LBB11_335:                             ;   Parent Loop BB11_2 Depth=1
                                        ; =>  This Inner Loop Header: Depth=2
	s_sleep 1
	global_store_dwordx2 v[0:1], v[14:15], off
	v_mov_b32_e32 v12, s6
	v_mov_b32_e32 v13, s7
	buffer_wbl2 sc0 sc1
	s_waitcnt vmcnt(0)
	global_atomic_cmpswap_x2 v[4:5], v3, v[12:15], s[8:9] offset:32 sc0 sc1
	s_waitcnt vmcnt(0)
	v_cmp_eq_u64_e32 vcc, v[4:5], v[14:15]
	s_or_b64 s[16:17], vcc, s[16:17]
	v_mov_b64_e32 v[14:15], v[4:5]
	s_andn2_b64 exec, exec, s[16:17]
	s_cbranch_execnz .LBB11_335
.LBB11_336:                             ;   in Loop: Header=BB11_2 Depth=1
	s_or_b64 exec, exec, s[14:15]
	global_load_dwordx2 v[0:1], v3, s[8:9] offset:16
	s_mov_b64 s[16:17], exec
	v_mbcnt_lo_u32_b32 v2, s16, 0
	v_mbcnt_hi_u32_b32 v2, s17, v2
	v_cmp_eq_u32_e32 vcc, 0, v2
	s_and_saveexec_b64 s[14:15], vcc
	s_cbranch_execz .LBB11_338
; %bb.337:                              ;   in Loop: Header=BB11_2 Depth=1
	s_bcnt1_i32_b64 s16, s[16:17]
	v_mov_b32_e32 v2, s16
	buffer_wbl2 sc0 sc1
	s_waitcnt vmcnt(0)
	global_atomic_add_x2 v[0:1], v[2:3], off offset:8 sc1
.LBB11_338:                             ;   in Loop: Header=BB11_2 Depth=1
	s_or_b64 exec, exec, s[14:15]
	s_waitcnt vmcnt(0)
	global_load_dwordx2 v[4:5], v[0:1], off offset:16
	s_waitcnt vmcnt(0)
	v_cmp_eq_u64_e32 vcc, 0, v[4:5]
	s_cbranch_vccnz .LBB11_340
; %bb.339:                              ;   in Loop: Header=BB11_2 Depth=1
	global_load_dword v2, v[0:1], off offset:24
	s_waitcnt vmcnt(0)
	v_readfirstlane_b32 s14, v2
	s_and_b32 m0, s14, 0xffffff
	buffer_wbl2 sc0 sc1
	global_store_dwordx2 v[4:5], v[2:3], off sc0 sc1
	s_sendmsg sendmsg(MSG_INTERRUPT)
.LBB11_340:                             ;   in Loop: Header=BB11_2 Depth=1
	s_or_b64 exec, exec, s[12:13]
	s_branch .LBB11_344
.LBB11_341:                             ;   in Loop: Header=BB11_344 Depth=2
	s_or_b64 exec, exec, s[12:13]
	v_readfirstlane_b32 s12, v0
	s_cmp_eq_u32 s12, 0
	s_cbranch_scc1 .LBB11_343
; %bb.342:                              ;   in Loop: Header=BB11_344 Depth=2
	s_sleep 1
	s_cbranch_execnz .LBB11_344
	s_branch .LBB11_346
.LBB11_343:                             ;   in Loop: Header=BB11_2 Depth=1
	s_branch .LBB11_346
.LBB11_344:                             ;   Parent Loop BB11_2 Depth=1
                                        ; =>  This Inner Loop Header: Depth=2
	v_mov_b32_e32 v0, 1
	s_and_saveexec_b64 s[12:13], s[0:1]
	s_cbranch_execz .LBB11_341
; %bb.345:                              ;   in Loop: Header=BB11_344 Depth=2
	global_load_dword v0, v[20:21], off offset:20 sc0 sc1
	s_waitcnt vmcnt(0)
	buffer_inv sc0 sc1
	v_and_b32_e32 v0, 1, v0
	s_branch .LBB11_341
.LBB11_346:                             ;   in Loop: Header=BB11_2 Depth=1
	s_and_saveexec_b64 s[12:13], s[0:1]
	s_cbranch_execz .LBB11_1
; %bb.347:                              ;   in Loop: Header=BB11_2 Depth=1
	global_load_dwordx2 v[0:1], v3, s[8:9] offset:40
	global_load_dwordx2 v[16:17], v3, s[8:9] offset:24 sc0 sc1
	global_load_dwordx2 v[4:5], v3, s[8:9]
	s_waitcnt vmcnt(2)
	v_readfirstlane_b32 s14, v0
	v_readfirstlane_b32 s15, v1
	s_add_u32 s16, s14, 1
	s_addc_u32 s17, s15, 0
	s_add_u32 s0, s16, s6
	s_addc_u32 s1, s17, s7
	s_cmp_eq_u64 s[0:1], 0
	s_cselect_b32 s1, s17, s1
	s_cselect_b32 s0, s16, s0
	s_and_b64 s[6:7], s[0:1], s[14:15]
	s_mul_i32 s7, s7, 24
	s_mul_hi_u32 s14, s6, 24
	s_mul_i32 s6, s6, 24
	s_add_i32 s7, s14, s7
	s_waitcnt vmcnt(0)
	v_lshl_add_u64 v[0:1], v[4:5], 0, s[6:7]
	v_mov_b32_e32 v14, s0
	global_store_dwordx2 v[0:1], v[16:17], off
	v_mov_b32_e32 v15, s1
	buffer_wbl2 sc0 sc1
	s_waitcnt vmcnt(0)
	global_atomic_cmpswap_x2 v[14:15], v3, v[14:17], s[8:9] offset:24 sc0 sc1
	s_waitcnt vmcnt(0)
	v_cmp_ne_u64_e32 vcc, v[14:15], v[16:17]
	s_and_b64 exec, exec, vcc
	s_cbranch_execz .LBB11_1
; %bb.348:                              ;   in Loop: Header=BB11_2 Depth=1
	s_mov_b64 s[6:7], 0
.LBB11_349:                             ;   Parent Loop BB11_2 Depth=1
                                        ; =>  This Inner Loop Header: Depth=2
	s_sleep 1
	global_store_dwordx2 v[0:1], v[14:15], off
	v_mov_b32_e32 v12, s0
	v_mov_b32_e32 v13, s1
	buffer_wbl2 sc0 sc1
	s_waitcnt vmcnt(0)
	global_atomic_cmpswap_x2 v[4:5], v3, v[12:15], s[8:9] offset:24 sc0 sc1
	s_waitcnt vmcnt(0)
	v_cmp_eq_u64_e32 vcc, v[4:5], v[14:15]
	s_or_b64 s[6:7], vcc, s[6:7]
	v_mov_b64_e32 v[14:15], v[4:5]
	s_andn2_b64 exec, exec, s[6:7]
	s_cbranch_execnz .LBB11_349
	s_branch .LBB11_1
.LBB11_350:
	s_endpgm
	.section	.rodata,"a",@progbits
	.p2align	6, 0x0
	.amdhsa_kernel _Z9printCutsiPN2rw3CutE
		.amdhsa_group_segment_fixed_size 0
		.amdhsa_private_segment_fixed_size 0
		.amdhsa_kernarg_size 272
		.amdhsa_user_sgpr_count 2
		.amdhsa_user_sgpr_dispatch_ptr 0
		.amdhsa_user_sgpr_queue_ptr 0
		.amdhsa_user_sgpr_kernarg_segment_ptr 1
		.amdhsa_user_sgpr_dispatch_id 0
		.amdhsa_user_sgpr_kernarg_preload_length 0
		.amdhsa_user_sgpr_kernarg_preload_offset 0
		.amdhsa_user_sgpr_private_segment_size 0
		.amdhsa_uses_dynamic_stack 0
		.amdhsa_enable_private_segment 0
		.amdhsa_system_sgpr_workgroup_id_x 1
		.amdhsa_system_sgpr_workgroup_id_y 0
		.amdhsa_system_sgpr_workgroup_id_z 0
		.amdhsa_system_sgpr_workgroup_info 0
		.amdhsa_system_vgpr_workitem_id 0
		.amdhsa_next_free_vgpr 48
		.amdhsa_next_free_sgpr 26
		.amdhsa_accum_offset 48
		.amdhsa_reserve_vcc 1
		.amdhsa_float_round_mode_32 0
		.amdhsa_float_round_mode_16_64 0
		.amdhsa_float_denorm_mode_32 3
		.amdhsa_float_denorm_mode_16_64 3
		.amdhsa_dx10_clamp 1
		.amdhsa_ieee_mode 1
		.amdhsa_fp16_overflow 0
		.amdhsa_tg_split 0
		.amdhsa_exception_fp_ieee_invalid_op 0
		.amdhsa_exception_fp_denorm_src 0
		.amdhsa_exception_fp_ieee_div_zero 0
		.amdhsa_exception_fp_ieee_overflow 0
		.amdhsa_exception_fp_ieee_underflow 0
		.amdhsa_exception_fp_ieee_inexact 0
		.amdhsa_exception_int_div_zero 0
	.end_amdhsa_kernel
	.text
.Lfunc_end11:
	.size	_Z9printCutsiPN2rw3CutE, .Lfunc_end11-_Z9printCutsiPN2rw3CutE
                                        ; -- End function
	.set _Z9printCutsiPN2rw3CutE.num_vgpr, 48
	.set _Z9printCutsiPN2rw3CutE.num_agpr, 0
	.set _Z9printCutsiPN2rw3CutE.numbered_sgpr, 26
	.set _Z9printCutsiPN2rw3CutE.num_named_barrier, 0
	.set _Z9printCutsiPN2rw3CutE.private_seg_size, 0
	.set _Z9printCutsiPN2rw3CutE.uses_vcc, 1
	.set _Z9printCutsiPN2rw3CutE.uses_flat_scratch, 0
	.set _Z9printCutsiPN2rw3CutE.has_dyn_sized_stack, 0
	.set _Z9printCutsiPN2rw3CutE.has_recursion, 0
	.set _Z9printCutsiPN2rw3CutE.has_indirect_call, 0
	.section	.AMDGPU.csdata,"",@progbits
; Kernel info:
; codeLenInByte = 13512
; TotalNumSgprs: 32
; NumVgprs: 48
; NumAgprs: 0
; TotalNumVgprs: 48
; ScratchSize: 0
; MemoryBound: 0
; FloatMode: 240
; IeeeMode: 1
; LDSByteSize: 0 bytes/workgroup (compile time only)
; SGPRBlocks: 3
; VGPRBlocks: 5
; NumSGPRsForWavesPerEU: 32
; NumVGPRsForWavesPerEU: 48
; AccumOffset: 48
; Occupancy: 8
; WaveLimiterHint : 1
; COMPUTE_PGM_RSRC2:SCRATCH_EN: 0
; COMPUTE_PGM_RSRC2:USER_SGPR: 2
; COMPUTE_PGM_RSRC2:TRAP_HANDLER: 0
; COMPUTE_PGM_RSRC2:TGID_X_EN: 1
; COMPUTE_PGM_RSRC2:TGID_Y_EN: 0
; COMPUTE_PGM_RSRC2:TGID_Z_EN: 0
; COMPUTE_PGM_RSRC2:TIDIG_COMP_CNT: 0
; COMPUTE_PGM_RSRC3_GFX90A:ACCUM_OFFSET: 11
; COMPUTE_PGM_RSRC3_GFX90A:TG_SPLIT: 0
	.text
	.protected	_Z7ConvertPiS_i         ; -- Begin function _Z7ConvertPiS_i
	.globl	_Z7ConvertPiS_i
	.p2align	8
	.type	_Z7ConvertPiS_i,@function
_Z7ConvertPiS_i:                        ; @_Z7ConvertPiS_i
; %bb.0:
	s_load_dword s3, s[0:1], 0x24
	s_load_dword s4, s[0:1], 0x10
	s_waitcnt lgkmcnt(0)
	s_and_b32 s3, s3, 0xffff
	s_mul_i32 s2, s2, s3
	v_add_u32_e32 v0, s2, v0
	v_cmp_gt_i32_e32 vcc, s4, v0
	s_and_saveexec_b64 s[2:3], vcc
	s_cbranch_execz .LBB12_2
; %bb.1:
	s_load_dwordx4 s[0:3], s[0:1], 0x0
	v_ashrrev_i32_e32 v1, 31, v0
	v_lshlrev_b64 v[0:1], 2, v[0:1]
	s_waitcnt lgkmcnt(0)
	v_lshl_add_u64 v[2:3], s[0:1], 0, v[0:1]
	global_load_dword v4, v[2:3], off
	v_lshl_add_u64 v[0:1], s[2:3], 0, v[0:1]
	s_waitcnt vmcnt(0)
	v_and_b32_e32 v4, 1, v4
	global_store_dword v[0:1], v4, off
	global_load_dword v0, v[2:3], off
	s_waitcnt vmcnt(0)
	v_ashrrev_i32_e32 v0, 1, v0
	global_store_dword v[2:3], v0, off
.LBB12_2:
	s_endpgm
	.section	.rodata,"a",@progbits
	.p2align	6, 0x0
	.amdhsa_kernel _Z7ConvertPiS_i
		.amdhsa_group_segment_fixed_size 0
		.amdhsa_private_segment_fixed_size 0
		.amdhsa_kernarg_size 280
		.amdhsa_user_sgpr_count 2
		.amdhsa_user_sgpr_dispatch_ptr 0
		.amdhsa_user_sgpr_queue_ptr 0
		.amdhsa_user_sgpr_kernarg_segment_ptr 1
		.amdhsa_user_sgpr_dispatch_id 0
		.amdhsa_user_sgpr_kernarg_preload_length 0
		.amdhsa_user_sgpr_kernarg_preload_offset 0
		.amdhsa_user_sgpr_private_segment_size 0
		.amdhsa_uses_dynamic_stack 0
		.amdhsa_enable_private_segment 0
		.amdhsa_system_sgpr_workgroup_id_x 1
		.amdhsa_system_sgpr_workgroup_id_y 0
		.amdhsa_system_sgpr_workgroup_id_z 0
		.amdhsa_system_sgpr_workgroup_info 0
		.amdhsa_system_vgpr_workitem_id 0
		.amdhsa_next_free_vgpr 5
		.amdhsa_next_free_sgpr 5
		.amdhsa_accum_offset 8
		.amdhsa_reserve_vcc 1
		.amdhsa_float_round_mode_32 0
		.amdhsa_float_round_mode_16_64 0
		.amdhsa_float_denorm_mode_32 3
		.amdhsa_float_denorm_mode_16_64 3
		.amdhsa_dx10_clamp 1
		.amdhsa_ieee_mode 1
		.amdhsa_fp16_overflow 0
		.amdhsa_tg_split 0
		.amdhsa_exception_fp_ieee_invalid_op 0
		.amdhsa_exception_fp_denorm_src 0
		.amdhsa_exception_fp_ieee_div_zero 0
		.amdhsa_exception_fp_ieee_overflow 0
		.amdhsa_exception_fp_ieee_underflow 0
		.amdhsa_exception_fp_ieee_inexact 0
		.amdhsa_exception_int_div_zero 0
	.end_amdhsa_kernel
	.text
.Lfunc_end12:
	.size	_Z7ConvertPiS_i, .Lfunc_end12-_Z7ConvertPiS_i
                                        ; -- End function
	.set _Z7ConvertPiS_i.num_vgpr, 5
	.set _Z7ConvertPiS_i.num_agpr, 0
	.set _Z7ConvertPiS_i.numbered_sgpr, 5
	.set _Z7ConvertPiS_i.num_named_barrier, 0
	.set _Z7ConvertPiS_i.private_seg_size, 0
	.set _Z7ConvertPiS_i.uses_vcc, 1
	.set _Z7ConvertPiS_i.uses_flat_scratch, 0
	.set _Z7ConvertPiS_i.has_dyn_sized_stack, 0
	.set _Z7ConvertPiS_i.has_recursion, 0
	.set _Z7ConvertPiS_i.has_indirect_call, 0
	.section	.AMDGPU.csdata,"",@progbits
; Kernel info:
; codeLenInByte = 140
; TotalNumSgprs: 11
; NumVgprs: 5
; NumAgprs: 0
; TotalNumVgprs: 5
; ScratchSize: 0
; MemoryBound: 0
; FloatMode: 240
; IeeeMode: 1
; LDSByteSize: 0 bytes/workgroup (compile time only)
; SGPRBlocks: 1
; VGPRBlocks: 0
; NumSGPRsForWavesPerEU: 11
; NumVGPRsForWavesPerEU: 5
; AccumOffset: 8
; Occupancy: 8
; WaveLimiterHint : 0
; COMPUTE_PGM_RSRC2:SCRATCH_EN: 0
; COMPUTE_PGM_RSRC2:USER_SGPR: 2
; COMPUTE_PGM_RSRC2:TRAP_HANDLER: 0
; COMPUTE_PGM_RSRC2:TGID_X_EN: 1
; COMPUTE_PGM_RSRC2:TGID_Y_EN: 0
; COMPUTE_PGM_RSRC2:TGID_Z_EN: 0
; COMPUTE_PGM_RSRC2:TIDIG_COMP_CNT: 0
; COMPUTE_PGM_RSRC3_GFX90A:ACCUM_OFFSET: 1
; COMPUTE_PGM_RSRC3_GFX90A:TG_SPLIT: 0
	.text
	.protected	_Z6RevertPiS_i          ; -- Begin function _Z6RevertPiS_i
	.globl	_Z6RevertPiS_i
	.p2align	8
	.type	_Z6RevertPiS_i,@function
_Z6RevertPiS_i:                         ; @_Z6RevertPiS_i
; %bb.0:
	s_load_dword s3, s[0:1], 0x24
	s_load_dword s4, s[0:1], 0x10
	s_waitcnt lgkmcnt(0)
	s_and_b32 s3, s3, 0xffff
	s_mul_i32 s2, s2, s3
	v_add_u32_e32 v0, s2, v0
	v_cmp_ge_i32_e32 vcc, s4, v0
	s_and_saveexec_b64 s[2:3], vcc
	s_cbranch_execz .LBB13_2
; %bb.1:
	s_load_dwordx4 s[0:3], s[0:1], 0x0
	v_ashrrev_i32_e32 v1, 31, v0
	v_lshlrev_b64 v[0:1], 2, v[0:1]
	s_waitcnt lgkmcnt(0)
	v_lshl_add_u64 v[2:3], s[0:1], 0, v[0:1]
	global_load_dword v4, v[2:3], off
	v_lshl_add_u64 v[0:1], s[2:3], 0, v[0:1]
	s_waitcnt vmcnt(0)
	v_lshlrev_b32_e32 v4, 1, v4
	global_store_dword v[2:3], v4, off
	global_load_dword v0, v[0:1], off
	s_waitcnt vmcnt(0)
	v_add_u32_e32 v0, v0, v4
	global_store_dword v[2:3], v0, off
.LBB13_2:
	s_endpgm
	.section	.rodata,"a",@progbits
	.p2align	6, 0x0
	.amdhsa_kernel _Z6RevertPiS_i
		.amdhsa_group_segment_fixed_size 0
		.amdhsa_private_segment_fixed_size 0
		.amdhsa_kernarg_size 280
		.amdhsa_user_sgpr_count 2
		.amdhsa_user_sgpr_dispatch_ptr 0
		.amdhsa_user_sgpr_queue_ptr 0
		.amdhsa_user_sgpr_kernarg_segment_ptr 1
		.amdhsa_user_sgpr_dispatch_id 0
		.amdhsa_user_sgpr_kernarg_preload_length 0
		.amdhsa_user_sgpr_kernarg_preload_offset 0
		.amdhsa_user_sgpr_private_segment_size 0
		.amdhsa_uses_dynamic_stack 0
		.amdhsa_enable_private_segment 0
		.amdhsa_system_sgpr_workgroup_id_x 1
		.amdhsa_system_sgpr_workgroup_id_y 0
		.amdhsa_system_sgpr_workgroup_id_z 0
		.amdhsa_system_sgpr_workgroup_info 0
		.amdhsa_system_vgpr_workitem_id 0
		.amdhsa_next_free_vgpr 5
		.amdhsa_next_free_sgpr 5
		.amdhsa_accum_offset 8
		.amdhsa_reserve_vcc 1
		.amdhsa_float_round_mode_32 0
		.amdhsa_float_round_mode_16_64 0
		.amdhsa_float_denorm_mode_32 3
		.amdhsa_float_denorm_mode_16_64 3
		.amdhsa_dx10_clamp 1
		.amdhsa_ieee_mode 1
		.amdhsa_fp16_overflow 0
		.amdhsa_tg_split 0
		.amdhsa_exception_fp_ieee_invalid_op 0
		.amdhsa_exception_fp_denorm_src 0
		.amdhsa_exception_fp_ieee_div_zero 0
		.amdhsa_exception_fp_ieee_overflow 0
		.amdhsa_exception_fp_ieee_underflow 0
		.amdhsa_exception_fp_ieee_inexact 0
		.amdhsa_exception_int_div_zero 0
	.end_amdhsa_kernel
	.text
.Lfunc_end13:
	.size	_Z6RevertPiS_i, .Lfunc_end13-_Z6RevertPiS_i
                                        ; -- End function
	.set _Z6RevertPiS_i.num_vgpr, 5
	.set _Z6RevertPiS_i.num_agpr, 0
	.set _Z6RevertPiS_i.numbered_sgpr, 5
	.set _Z6RevertPiS_i.num_named_barrier, 0
	.set _Z6RevertPiS_i.private_seg_size, 0
	.set _Z6RevertPiS_i.uses_vcc, 1
	.set _Z6RevertPiS_i.uses_flat_scratch, 0
	.set _Z6RevertPiS_i.has_dyn_sized_stack, 0
	.set _Z6RevertPiS_i.has_recursion, 0
	.set _Z6RevertPiS_i.has_indirect_call, 0
	.section	.AMDGPU.csdata,"",@progbits
; Kernel info:
; codeLenInByte = 140
; TotalNumSgprs: 11
; NumVgprs: 5
; NumAgprs: 0
; TotalNumVgprs: 5
; ScratchSize: 0
; MemoryBound: 0
; FloatMode: 240
; IeeeMode: 1
; LDSByteSize: 0 bytes/workgroup (compile time only)
; SGPRBlocks: 1
; VGPRBlocks: 0
; NumSGPRsForWavesPerEU: 11
; NumVGPRsForWavesPerEU: 5
; AccumOffset: 8
; Occupancy: 8
; WaveLimiterHint : 0
; COMPUTE_PGM_RSRC2:SCRATCH_EN: 0
; COMPUTE_PGM_RSRC2:USER_SGPR: 2
; COMPUTE_PGM_RSRC2:TRAP_HANDLER: 0
; COMPUTE_PGM_RSRC2:TGID_X_EN: 1
; COMPUTE_PGM_RSRC2:TGID_Y_EN: 0
; COMPUTE_PGM_RSRC2:TGID_Z_EN: 0
; COMPUTE_PGM_RSRC2:TIDIG_COMP_CNT: 0
; COMPUTE_PGM_RSRC3_GFX90A:ACCUM_OFFSET: 1
; COMPUTE_PGM_RSRC3_GFX90A:TG_SPLIT: 0
	.text
	.protected	_Z5printiPN2rw3CutEPi   ; -- Begin function _Z5printiPN2rw3CutEPi
	.globl	_Z5printiPN2rw3CutEPi
	.p2align	8
	.type	_Z5printiPN2rw3CutEPi,@function
_Z5printiPN2rw3CutEPi:                  ; @_Z5printiPN2rw3CutEPi
; %bb.0:
	s_load_dword s26, s[0:1], 0x0
	s_mov_b32 s27, 1
	s_waitcnt lgkmcnt(0)
	s_cmp_lt_i32 s26, 1
	s_cbranch_scc1 .LBB14_223
; %bb.1:
	s_load_dwordx2 s[2:3], s[0:1], 0x8
	s_add_u32 s8, s0, 24
	s_addc_u32 s9, s1, 0
	s_getpc_b64 s[0:1]
	s_add_u32 s0, s0, .str.4@rel32@lo+4
	s_addc_u32 s1, s1, .str.4@rel32@hi+12
	v_mbcnt_lo_u32_b32 v0, -1, 0
	s_cmp_lg_u64 s[0:1], 0
	v_mov_b32_e32 v3, 0
	v_mbcnt_hi_u32_b32 v40, -1, v0
	s_cselect_b64 s[10:11], -1, 0
	s_mov_b32 s4, 0
	s_movk_i32 s28, 0xff1f
	s_movk_i32 s29, 0xff1d
	v_mov_b32_e32 v6, 2
	v_mov_b32_e32 v7, 1
	v_lshlrev_b32_e32 v36, 6, v40
	v_mov_b32_e32 v8, 33
	v_mov_b32_e32 v9, v3
	;; [unrolled: 1-line block ×4, first 2 shown]
	s_branch .LBB14_4
.LBB14_2:                               ;   in Loop: Header=BB14_4 Depth=1
	s_or_b64 exec, exec, s[6:7]
.LBB14_3:                               ;   in Loop: Header=BB14_4 Depth=1
	s_add_i32 s0, s27, 1
	s_cmp_eq_u32 s27, s26
	s_mov_b32 s27, s0
	s_cbranch_scc1 .LBB14_223
.LBB14_4:                               ; =>This Loop Header: Depth=1
                                        ;     Child Loop BB14_8 Depth 2
                                        ;     Child Loop BB14_16 Depth 2
	;; [unrolled: 1-line block ×9, first 2 shown]
                                        ;       Child Loop BB14_37 Depth 3
                                        ;       Child Loop BB14_45 Depth 3
                                        ;       Child Loop BB14_53 Depth 3
                                        ;       Child Loop BB14_61 Depth 3
                                        ;       Child Loop BB14_69 Depth 3
                                        ;       Child Loop BB14_77 Depth 3
                                        ;       Child Loop BB14_85 Depth 3
                                        ;       Child Loop BB14_93 Depth 3
                                        ;       Child Loop BB14_101 Depth 3
                                        ;       Child Loop BB14_110 Depth 3
                                        ;       Child Loop BB14_115 Depth 3
                                        ;     Child Loop BB14_148 Depth 2
                                        ;     Child Loop BB14_156 Depth 2
	;; [unrolled: 1-line block ×12, first 2 shown]
	s_mul_i32 s0, s27, 28
	s_mul_hi_u32 s1, s27, 28
	s_waitcnt lgkmcnt(0)
	s_add_u32 s0, s2, s0
	s_addc_u32 s1, s3, s1
	global_load_ubyte v0, v3, s[0:1] offset:24
	s_waitcnt vmcnt(0)
	v_cmp_eq_u32_e32 vcc, 0, v0
	s_cbranch_vccnz .LBB14_3
; %bb.5:                                ;   in Loop: Header=BB14_4 Depth=1
	global_load_dword v15, v3, s[0:1] offset:20
	global_load_dword v14, v3, s[0:1]
	s_load_dwordx2 s[12:13], s[8:9], 0x50
	v_readfirstlane_b32 s0, v40
	v_mov_b64_e32 v[0:1], 0
	s_nop 0
	v_cmp_eq_u32_e64 s[0:1], s0, v40
	s_and_saveexec_b64 s[6:7], s[0:1]
	s_cbranch_execz .LBB14_11
; %bb.6:                                ;   in Loop: Header=BB14_4 Depth=1
	s_waitcnt lgkmcnt(0)
	global_load_dwordx2 v[18:19], v3, s[12:13] offset:24 sc0 sc1
	s_waitcnt vmcnt(0)
	buffer_inv sc0 sc1
	global_load_dwordx2 v[0:1], v3, s[12:13] offset:40
	global_load_dwordx2 v[4:5], v3, s[12:13]
	s_waitcnt vmcnt(1)
	v_and_b32_e32 v0, v0, v18
	v_and_b32_e32 v1, v1, v19
	v_mul_lo_u32 v1, v1, 24
	v_mul_hi_u32 v2, v0, 24
	v_add_u32_e32 v1, v2, v1
	v_mul_lo_u32 v0, v0, 24
	s_waitcnt vmcnt(0)
	v_lshl_add_u64 v[0:1], v[4:5], 0, v[0:1]
	global_load_dwordx2 v[16:17], v[0:1], off sc0 sc1
	s_waitcnt vmcnt(0)
	global_atomic_cmpswap_x2 v[0:1], v3, v[16:19], s[12:13] offset:24 sc0 sc1
	s_waitcnt vmcnt(0)
	buffer_inv sc0 sc1
	v_cmp_ne_u64_e32 vcc, v[0:1], v[18:19]
	s_and_saveexec_b64 s[14:15], vcc
	s_cbranch_execz .LBB14_10
; %bb.7:                                ;   in Loop: Header=BB14_4 Depth=1
	s_mov_b64 s[16:17], 0
.LBB14_8:                               ;   Parent Loop BB14_4 Depth=1
                                        ; =>  This Inner Loop Header: Depth=2
	s_sleep 1
	global_load_dwordx2 v[4:5], v3, s[12:13] offset:40
	global_load_dwordx2 v[12:13], v3, s[12:13]
	v_mov_b64_e32 v[18:19], v[0:1]
	s_waitcnt vmcnt(1)
	v_and_b32_e32 v0, v4, v18
	s_waitcnt vmcnt(0)
	v_mad_u64_u32 v[0:1], s[18:19], v0, 24, v[12:13]
	v_and_b32_e32 v5, v5, v19
	v_mov_b32_e32 v2, v1
	v_mad_u64_u32 v[4:5], s[18:19], v5, 24, v[2:3]
	v_mov_b32_e32 v1, v4
	global_load_dwordx2 v[16:17], v[0:1], off sc0 sc1
	s_waitcnt vmcnt(0)
	global_atomic_cmpswap_x2 v[0:1], v3, v[16:19], s[12:13] offset:24 sc0 sc1
	s_waitcnt vmcnt(0)
	buffer_inv sc0 sc1
	v_cmp_eq_u64_e32 vcc, v[0:1], v[18:19]
	s_or_b64 s[16:17], vcc, s[16:17]
	s_andn2_b64 exec, exec, s[16:17]
	s_cbranch_execnz .LBB14_8
; %bb.9:                                ;   in Loop: Header=BB14_4 Depth=1
	s_or_b64 exec, exec, s[16:17]
.LBB14_10:                              ;   in Loop: Header=BB14_4 Depth=1
	s_or_b64 exec, exec, s[14:15]
.LBB14_11:                              ;   in Loop: Header=BB14_4 Depth=1
	s_or_b64 exec, exec, s[6:7]
	s_waitcnt lgkmcnt(0)
	global_load_dwordx2 v[4:5], v3, s[12:13] offset:40
	global_load_dwordx4 v[16:19], v3, s[12:13]
	v_readfirstlane_b32 s15, v1
	v_readfirstlane_b32 s14, v0
	s_mov_b64 s[6:7], exec
	s_waitcnt vmcnt(1)
	v_readfirstlane_b32 s16, v4
	v_readfirstlane_b32 s17, v5
	s_and_b64 s[16:17], s[16:17], s[14:15]
	s_mul_i32 s5, s17, 24
	s_mul_hi_u32 s18, s16, 24
	s_add_i32 s19, s18, s5
	s_mul_i32 s18, s16, 24
	s_waitcnt vmcnt(0)
	v_lshl_add_u64 v[0:1], v[16:17], 0, s[18:19]
	s_and_saveexec_b64 s[18:19], s[0:1]
	s_cbranch_execz .LBB14_13
; %bb.12:                               ;   in Loop: Header=BB14_4 Depth=1
	v_mov_b64_e32 v[4:5], s[6:7]
	global_store_dwordx4 v[0:1], v[4:7], off offset:8
.LBB14_13:                              ;   in Loop: Header=BB14_4 Depth=1
	s_or_b64 exec, exec, s[18:19]
	s_lshl_b64 s[6:7], s[16:17], 12
	v_lshl_add_u64 v[4:5], v[18:19], 0, s[6:7]
	s_mov_b32 s6, s4
	s_mov_b32 s7, s4
	;; [unrolled: 1-line block ×3, first 2 shown]
	v_mov_b64_e32 v[20:21], s[6:7]
	v_readfirstlane_b32 s16, v4
	v_readfirstlane_b32 s17, v5
	v_mov_b64_e32 v[18:19], s[4:5]
	s_nop 3
	global_store_dwordx4 v36, v[8:11], s[16:17]
	global_store_dwordx4 v36, v[18:21], s[16:17] offset:16
	global_store_dwordx4 v36, v[18:21], s[16:17] offset:32
	global_store_dwordx4 v36, v[18:21], s[16:17] offset:48
	s_and_saveexec_b64 s[6:7], s[0:1]
	s_cbranch_execz .LBB14_21
; %bb.14:                               ;   in Loop: Header=BB14_4 Depth=1
	global_load_dwordx2 v[20:21], v3, s[12:13] offset:32 sc0 sc1
	global_load_dwordx2 v[12:13], v3, s[12:13] offset:40
	v_mov_b32_e32 v18, s14
	s_waitcnt vmcnt(0)
	v_and_b32_e32 v2, s14, v12
	v_and_b32_e32 v12, s15, v13
	v_mul_lo_u32 v13, v12, 24
	v_mul_hi_u32 v19, v2, 24
	v_mul_lo_u32 v12, v2, 24
	v_add_u32_e32 v13, v19, v13
	v_lshl_add_u64 v[12:13], v[16:17], 0, v[12:13]
	global_store_dwordx2 v[12:13], v[20:21], off
	v_mov_b32_e32 v19, s15
	buffer_wbl2 sc0 sc1
	s_waitcnt vmcnt(0)
	global_atomic_cmpswap_x2 v[18:19], v3, v[18:21], s[12:13] offset:32 sc0 sc1
	s_waitcnt vmcnt(0)
	v_cmp_ne_u64_e32 vcc, v[18:19], v[20:21]
	s_and_saveexec_b64 s[16:17], vcc
	s_cbranch_execz .LBB14_17
; %bb.15:                               ;   in Loop: Header=BB14_4 Depth=1
	s_mov_b64 s[18:19], 0
.LBB14_16:                              ;   Parent Loop BB14_4 Depth=1
                                        ; =>  This Inner Loop Header: Depth=2
	s_sleep 1
	global_store_dwordx2 v[12:13], v[18:19], off
	v_mov_b32_e32 v16, s14
	v_mov_b32_e32 v17, s15
	buffer_wbl2 sc0 sc1
	s_waitcnt vmcnt(0)
	global_atomic_cmpswap_x2 v[16:17], v3, v[16:19], s[12:13] offset:32 sc0 sc1
	s_waitcnt vmcnt(0)
	v_cmp_eq_u64_e32 vcc, v[16:17], v[18:19]
	s_or_b64 s[18:19], vcc, s[18:19]
	v_mov_b64_e32 v[18:19], v[16:17]
	s_andn2_b64 exec, exec, s[18:19]
	s_cbranch_execnz .LBB14_16
.LBB14_17:                              ;   in Loop: Header=BB14_4 Depth=1
	s_or_b64 exec, exec, s[16:17]
	global_load_dwordx2 v[12:13], v3, s[12:13] offset:16
	s_mov_b64 s[18:19], exec
	v_mbcnt_lo_u32_b32 v2, s18, 0
	v_mbcnt_hi_u32_b32 v2, s19, v2
	v_cmp_eq_u32_e32 vcc, 0, v2
	s_and_saveexec_b64 s[16:17], vcc
	s_cbranch_execz .LBB14_19
; %bb.18:                               ;   in Loop: Header=BB14_4 Depth=1
	s_bcnt1_i32_b64 s5, s[18:19]
	v_mov_b32_e32 v2, s5
	buffer_wbl2 sc0 sc1
	s_waitcnt vmcnt(0)
	global_atomic_add_x2 v[12:13], v[2:3], off offset:8 sc1
.LBB14_19:                              ;   in Loop: Header=BB14_4 Depth=1
	s_or_b64 exec, exec, s[16:17]
	s_waitcnt vmcnt(0)
	global_load_dwordx2 v[16:17], v[12:13], off offset:16
	s_waitcnt vmcnt(0)
	v_cmp_eq_u64_e32 vcc, 0, v[16:17]
	s_cbranch_vccnz .LBB14_21
; %bb.20:                               ;   in Loop: Header=BB14_4 Depth=1
	global_load_dword v2, v[12:13], off offset:24
	s_waitcnt vmcnt(0)
	v_readfirstlane_b32 s5, v2
	s_and_b32 m0, s5, 0xffffff
	buffer_wbl2 sc0 sc1
	global_store_dwordx2 v[16:17], v[2:3], off sc0 sc1
	s_sendmsg sendmsg(MSG_INTERRUPT)
.LBB14_21:                              ;   in Loop: Header=BB14_4 Depth=1
	s_or_b64 exec, exec, s[6:7]
	v_mov_b32_e32 v37, v3
	v_lshl_add_u64 v[4:5], v[4:5], 0, v[36:37]
	s_branch .LBB14_25
.LBB14_22:                              ;   in Loop: Header=BB14_25 Depth=2
	s_or_b64 exec, exec, s[6:7]
	v_readfirstlane_b32 s5, v2
	s_cmp_eq_u32 s5, 0
	s_cbranch_scc1 .LBB14_24
; %bb.23:                               ;   in Loop: Header=BB14_25 Depth=2
	s_sleep 1
	s_cbranch_execnz .LBB14_25
	s_branch .LBB14_27
.LBB14_24:                              ;   in Loop: Header=BB14_4 Depth=1
	s_branch .LBB14_27
.LBB14_25:                              ;   Parent Loop BB14_4 Depth=1
                                        ; =>  This Inner Loop Header: Depth=2
	v_mov_b32_e32 v2, 1
	s_and_saveexec_b64 s[6:7], s[0:1]
	s_cbranch_execz .LBB14_22
; %bb.26:                               ;   in Loop: Header=BB14_25 Depth=2
	global_load_dword v2, v[0:1], off offset:20 sc0 sc1
	s_waitcnt vmcnt(0)
	buffer_inv sc0 sc1
	v_and_b32_e32 v2, 1, v2
	s_branch .LBB14_22
.LBB14_27:                              ;   in Loop: Header=BB14_4 Depth=1
	global_load_dwordx2 v[0:1], v[4:5], off
	s_and_saveexec_b64 s[6:7], s[0:1]
	s_cbranch_execz .LBB14_31
; %bb.28:                               ;   in Loop: Header=BB14_4 Depth=1
	global_load_dwordx2 v[4:5], v3, s[12:13] offset:40
	global_load_dwordx2 v[20:21], v3, s[12:13] offset:24 sc0 sc1
	global_load_dwordx2 v[12:13], v3, s[12:13]
	s_waitcnt vmcnt(2)
	v_readfirstlane_b32 s16, v4
	v_readfirstlane_b32 s17, v5
	s_add_u32 s5, s16, 1
	s_addc_u32 s18, s17, 0
	s_add_u32 s0, s5, s14
	s_addc_u32 s1, s18, s15
	s_cmp_eq_u64 s[0:1], 0
	s_cselect_b32 s1, s18, s1
	s_cselect_b32 s0, s5, s0
	s_and_b64 s[14:15], s[0:1], s[16:17]
	s_mul_i32 s5, s15, 24
	s_mul_hi_u32 s15, s14, 24
	s_mul_i32 s14, s14, 24
	s_add_i32 s15, s15, s5
	s_waitcnt vmcnt(0)
	v_lshl_add_u64 v[4:5], v[12:13], 0, s[14:15]
	v_mov_b32_e32 v18, s0
	global_store_dwordx2 v[4:5], v[20:21], off
	v_mov_b32_e32 v19, s1
	buffer_wbl2 sc0 sc1
	s_waitcnt vmcnt(0)
	global_atomic_cmpswap_x2 v[18:19], v3, v[18:21], s[12:13] offset:24 sc0 sc1
	s_waitcnt vmcnt(0)
	v_cmp_ne_u64_e32 vcc, v[18:19], v[20:21]
	s_and_b64 exec, exec, vcc
	s_cbranch_execz .LBB14_31
; %bb.29:                               ;   in Loop: Header=BB14_4 Depth=1
	s_mov_b64 s[14:15], 0
.LBB14_30:                              ;   Parent Loop BB14_4 Depth=1
                                        ; =>  This Inner Loop Header: Depth=2
	s_sleep 1
	global_store_dwordx2 v[4:5], v[18:19], off
	v_mov_b32_e32 v16, s0
	v_mov_b32_e32 v17, s1
	buffer_wbl2 sc0 sc1
	s_waitcnt vmcnt(0)
	global_atomic_cmpswap_x2 v[12:13], v3, v[16:19], s[12:13] offset:24 sc0 sc1
	s_waitcnt vmcnt(0)
	v_cmp_eq_u64_e32 vcc, v[12:13], v[18:19]
	s_or_b64 s[14:15], vcc, s[14:15]
	v_mov_b64_e32 v[18:19], v[12:13]
	s_andn2_b64 exec, exec, s[14:15]
	s_cbranch_execnz .LBB14_30
.LBB14_31:                              ;   in Loop: Header=BB14_4 Depth=1
	s_or_b64 exec, exec, s[6:7]
	s_and_b64 vcc, exec, s[10:11]
	s_cbranch_vccz .LBB14_117
; %bb.32:                               ;   in Loop: Header=BB14_4 Depth=1
	s_waitcnt vmcnt(0)
	v_and_b32_e32 v12, 2, v0
	v_and_b32_e32 v16, -3, v0
	v_mov_b32_e32 v17, v1
	s_mov_b64 s[14:15], 20
	s_getpc_b64 s[6:7]
	s_add_u32 s6, s6, .str.4@rel32@lo+4
	s_addc_u32 s7, s7, .str.4@rel32@hi+12
	s_branch .LBB14_34
.LBB14_33:                              ;   in Loop: Header=BB14_34 Depth=2
	s_or_b64 exec, exec, s[20:21]
	s_sub_u32 s14, s14, s16
	s_subb_u32 s15, s15, s17
	s_add_u32 s6, s6, s16
	s_addc_u32 s7, s7, s17
	s_cmp_lg_u64 s[14:15], 0
	s_cbranch_scc0 .LBB14_116
.LBB14_34:                              ;   Parent Loop BB14_4 Depth=1
                                        ; =>  This Loop Header: Depth=2
                                        ;       Child Loop BB14_37 Depth 3
                                        ;       Child Loop BB14_45 Depth 3
	;; [unrolled: 1-line block ×11, first 2 shown]
	v_cmp_lt_u64_e64 s[0:1], s[14:15], 56
	s_and_b64 s[0:1], s[0:1], exec
	s_cselect_b32 s17, s15, 0
	s_cselect_b32 s16, s14, 56
	v_cmp_gt_u64_e64 s[18:19], s[14:15], 7
	s_add_u32 s0, s6, 8
	s_addc_u32 s1, s7, 0
	s_and_b64 vcc, exec, s[18:19]
	s_cbranch_vccnz .LBB14_38
; %bb.35:                               ;   in Loop: Header=BB14_34 Depth=2
	s_cmp_eq_u64 s[14:15], 0
	s_cbranch_scc1 .LBB14_39
; %bb.36:                               ;   in Loop: Header=BB14_34 Depth=2
	s_lshl_b64 s[0:1], s[16:17], 3
	s_mov_b64 s[18:19], 0
	v_mov_b64_e32 v[18:19], 0
	s_mov_b64 s[20:21], s[6:7]
.LBB14_37:                              ;   Parent Loop BB14_4 Depth=1
                                        ;     Parent Loop BB14_34 Depth=2
                                        ; =>    This Inner Loop Header: Depth=3
	global_load_ubyte v2, v3, s[20:21]
	s_waitcnt vmcnt(0)
	v_and_b32_e32 v2, 0xffff, v2
	v_lshlrev_b64 v[4:5], s18, v[2:3]
	s_add_u32 s18, s18, 8
	s_addc_u32 s19, s19, 0
	s_add_u32 s20, s20, 1
	s_addc_u32 s21, s21, 0
	v_or_b32_e32 v18, v4, v18
	s_cmp_lg_u32 s0, s18
	v_or_b32_e32 v19, v5, v19
	s_cbranch_scc1 .LBB14_37
	s_branch .LBB14_40
.LBB14_38:                              ;   in Loop: Header=BB14_34 Depth=2
	s_mov_b32 s5, 0
	s_branch .LBB14_41
.LBB14_39:                              ;   in Loop: Header=BB14_34 Depth=2
	v_mov_b64_e32 v[18:19], 0
.LBB14_40:                              ;   in Loop: Header=BB14_34 Depth=2
	s_mov_b64 s[0:1], s[6:7]
	s_mov_b32 s5, 0
	s_cbranch_execnz .LBB14_42
.LBB14_41:                              ;   in Loop: Header=BB14_34 Depth=2
	global_load_dwordx2 v[18:19], v3, s[6:7]
	s_add_i32 s5, s16, -8
.LBB14_42:                              ;   in Loop: Header=BB14_34 Depth=2
	s_add_u32 s18, s0, 8
	s_addc_u32 s19, s1, 0
	s_cmp_gt_u32 s5, 7
	s_cbranch_scc1 .LBB14_46
; %bb.43:                               ;   in Loop: Header=BB14_34 Depth=2
	s_cmp_eq_u32 s5, 0
	s_cbranch_scc1 .LBB14_47
; %bb.44:                               ;   in Loop: Header=BB14_34 Depth=2
	s_mov_b64 s[18:19], 0
	v_mov_b64_e32 v[20:21], 0
	s_mov_b64 s[20:21], 0
.LBB14_45:                              ;   Parent Loop BB14_4 Depth=1
                                        ;     Parent Loop BB14_34 Depth=2
                                        ; =>    This Inner Loop Header: Depth=3
	s_add_u32 s22, s0, s20
	s_addc_u32 s23, s1, s21
	global_load_ubyte v2, v3, s[22:23]
	s_add_u32 s20, s20, 1
	s_addc_u32 s21, s21, 0
	s_waitcnt vmcnt(0)
	v_and_b32_e32 v2, 0xffff, v2
	v_lshlrev_b64 v[4:5], s18, v[2:3]
	s_add_u32 s18, s18, 8
	s_addc_u32 s19, s19, 0
	v_or_b32_e32 v20, v4, v20
	s_cmp_lg_u32 s5, s20
	v_or_b32_e32 v21, v5, v21
	s_cbranch_scc1 .LBB14_45
	s_branch .LBB14_48
.LBB14_46:                              ;   in Loop: Header=BB14_34 Depth=2
                                        ; implicit-def: $vgpr20_vgpr21
	s_mov_b32 s22, 0
	s_branch .LBB14_49
.LBB14_47:                              ;   in Loop: Header=BB14_34 Depth=2
	v_mov_b64_e32 v[20:21], 0
.LBB14_48:                              ;   in Loop: Header=BB14_34 Depth=2
	s_mov_b64 s[18:19], s[0:1]
	s_mov_b32 s22, 0
	s_cbranch_execnz .LBB14_50
.LBB14_49:                              ;   in Loop: Header=BB14_34 Depth=2
	global_load_dwordx2 v[20:21], v3, s[0:1]
	s_add_i32 s22, s5, -8
.LBB14_50:                              ;   in Loop: Header=BB14_34 Depth=2
	s_add_u32 s0, s18, 8
	s_addc_u32 s1, s19, 0
	s_cmp_gt_u32 s22, 7
	s_cbranch_scc1 .LBB14_54
; %bb.51:                               ;   in Loop: Header=BB14_34 Depth=2
	s_cmp_eq_u32 s22, 0
	s_cbranch_scc1 .LBB14_55
; %bb.52:                               ;   in Loop: Header=BB14_34 Depth=2
	s_mov_b64 s[0:1], 0
	v_mov_b64_e32 v[22:23], 0
	s_mov_b64 s[20:21], 0
.LBB14_53:                              ;   Parent Loop BB14_4 Depth=1
                                        ;     Parent Loop BB14_34 Depth=2
                                        ; =>    This Inner Loop Header: Depth=3
	s_add_u32 s24, s18, s20
	s_addc_u32 s25, s19, s21
	global_load_ubyte v2, v3, s[24:25]
	s_add_u32 s20, s20, 1
	s_addc_u32 s21, s21, 0
	s_waitcnt vmcnt(0)
	v_and_b32_e32 v2, 0xffff, v2
	v_lshlrev_b64 v[4:5], s0, v[2:3]
	s_add_u32 s0, s0, 8
	s_addc_u32 s1, s1, 0
	v_or_b32_e32 v22, v4, v22
	s_cmp_lg_u32 s22, s20
	v_or_b32_e32 v23, v5, v23
	s_cbranch_scc1 .LBB14_53
	s_branch .LBB14_56
.LBB14_54:                              ;   in Loop: Header=BB14_34 Depth=2
	s_mov_b32 s5, 0
	s_branch .LBB14_57
.LBB14_55:                              ;   in Loop: Header=BB14_34 Depth=2
	v_mov_b64_e32 v[22:23], 0
.LBB14_56:                              ;   in Loop: Header=BB14_34 Depth=2
	s_mov_b64 s[0:1], s[18:19]
	s_mov_b32 s5, 0
	s_cbranch_execnz .LBB14_58
.LBB14_57:                              ;   in Loop: Header=BB14_34 Depth=2
	global_load_dwordx2 v[22:23], v3, s[18:19]
	s_add_i32 s5, s22, -8
.LBB14_58:                              ;   in Loop: Header=BB14_34 Depth=2
	s_add_u32 s18, s0, 8
	s_addc_u32 s19, s1, 0
	s_cmp_gt_u32 s5, 7
	s_cbranch_scc1 .LBB14_62
; %bb.59:                               ;   in Loop: Header=BB14_34 Depth=2
	s_cmp_eq_u32 s5, 0
	s_cbranch_scc1 .LBB14_63
; %bb.60:                               ;   in Loop: Header=BB14_34 Depth=2
	s_mov_b64 s[18:19], 0
	v_mov_b64_e32 v[24:25], 0
	s_mov_b64 s[20:21], 0
.LBB14_61:                              ;   Parent Loop BB14_4 Depth=1
                                        ;     Parent Loop BB14_34 Depth=2
                                        ; =>    This Inner Loop Header: Depth=3
	s_add_u32 s22, s0, s20
	s_addc_u32 s23, s1, s21
	global_load_ubyte v2, v3, s[22:23]
	s_add_u32 s20, s20, 1
	s_addc_u32 s21, s21, 0
	s_waitcnt vmcnt(0)
	v_and_b32_e32 v2, 0xffff, v2
	v_lshlrev_b64 v[4:5], s18, v[2:3]
	s_add_u32 s18, s18, 8
	s_addc_u32 s19, s19, 0
	v_or_b32_e32 v24, v4, v24
	s_cmp_lg_u32 s5, s20
	v_or_b32_e32 v25, v5, v25
	s_cbranch_scc1 .LBB14_61
	s_branch .LBB14_64
.LBB14_62:                              ;   in Loop: Header=BB14_34 Depth=2
                                        ; implicit-def: $vgpr24_vgpr25
	s_mov_b32 s22, 0
	s_branch .LBB14_65
.LBB14_63:                              ;   in Loop: Header=BB14_34 Depth=2
	v_mov_b64_e32 v[24:25], 0
.LBB14_64:                              ;   in Loop: Header=BB14_34 Depth=2
	s_mov_b64 s[18:19], s[0:1]
	s_mov_b32 s22, 0
	s_cbranch_execnz .LBB14_66
.LBB14_65:                              ;   in Loop: Header=BB14_34 Depth=2
	global_load_dwordx2 v[24:25], v3, s[0:1]
	s_add_i32 s22, s5, -8
.LBB14_66:                              ;   in Loop: Header=BB14_34 Depth=2
	s_add_u32 s0, s18, 8
	s_addc_u32 s1, s19, 0
	s_cmp_gt_u32 s22, 7
	s_cbranch_scc1 .LBB14_70
; %bb.67:                               ;   in Loop: Header=BB14_34 Depth=2
	s_cmp_eq_u32 s22, 0
	s_cbranch_scc1 .LBB14_71
; %bb.68:                               ;   in Loop: Header=BB14_34 Depth=2
	s_mov_b64 s[0:1], 0
	v_mov_b64_e32 v[26:27], 0
	s_mov_b64 s[20:21], 0
.LBB14_69:                              ;   Parent Loop BB14_4 Depth=1
                                        ;     Parent Loop BB14_34 Depth=2
                                        ; =>    This Inner Loop Header: Depth=3
	s_add_u32 s24, s18, s20
	s_addc_u32 s25, s19, s21
	global_load_ubyte v2, v3, s[24:25]
	s_add_u32 s20, s20, 1
	s_addc_u32 s21, s21, 0
	s_waitcnt vmcnt(0)
	v_and_b32_e32 v2, 0xffff, v2
	v_lshlrev_b64 v[4:5], s0, v[2:3]
	s_add_u32 s0, s0, 8
	s_addc_u32 s1, s1, 0
	v_or_b32_e32 v26, v4, v26
	s_cmp_lg_u32 s22, s20
	v_or_b32_e32 v27, v5, v27
	s_cbranch_scc1 .LBB14_69
	s_branch .LBB14_72
.LBB14_70:                              ;   in Loop: Header=BB14_34 Depth=2
	s_mov_b32 s5, 0
	s_branch .LBB14_73
.LBB14_71:                              ;   in Loop: Header=BB14_34 Depth=2
	v_mov_b64_e32 v[26:27], 0
.LBB14_72:                              ;   in Loop: Header=BB14_34 Depth=2
	s_mov_b64 s[0:1], s[18:19]
	s_mov_b32 s5, 0
	s_cbranch_execnz .LBB14_74
.LBB14_73:                              ;   in Loop: Header=BB14_34 Depth=2
	global_load_dwordx2 v[26:27], v3, s[18:19]
	s_add_i32 s5, s22, -8
.LBB14_74:                              ;   in Loop: Header=BB14_34 Depth=2
	s_add_u32 s18, s0, 8
	s_addc_u32 s19, s1, 0
	s_cmp_gt_u32 s5, 7
	s_cbranch_scc1 .LBB14_78
; %bb.75:                               ;   in Loop: Header=BB14_34 Depth=2
	s_cmp_eq_u32 s5, 0
	s_cbranch_scc1 .LBB14_79
; %bb.76:                               ;   in Loop: Header=BB14_34 Depth=2
	s_mov_b64 s[18:19], 0
	v_mov_b64_e32 v[28:29], 0
	s_mov_b64 s[20:21], 0
.LBB14_77:                              ;   Parent Loop BB14_4 Depth=1
                                        ;     Parent Loop BB14_34 Depth=2
                                        ; =>    This Inner Loop Header: Depth=3
	s_add_u32 s22, s0, s20
	s_addc_u32 s23, s1, s21
	global_load_ubyte v2, v3, s[22:23]
	s_add_u32 s20, s20, 1
	s_addc_u32 s21, s21, 0
	s_waitcnt vmcnt(0)
	v_and_b32_e32 v2, 0xffff, v2
	v_lshlrev_b64 v[4:5], s18, v[2:3]
	s_add_u32 s18, s18, 8
	s_addc_u32 s19, s19, 0
	v_or_b32_e32 v28, v4, v28
	s_cmp_lg_u32 s5, s20
	v_or_b32_e32 v29, v5, v29
	s_cbranch_scc1 .LBB14_77
	s_branch .LBB14_80
.LBB14_78:                              ;   in Loop: Header=BB14_34 Depth=2
                                        ; implicit-def: $vgpr28_vgpr29
	s_mov_b32 s22, 0
	s_branch .LBB14_81
.LBB14_79:                              ;   in Loop: Header=BB14_34 Depth=2
	v_mov_b64_e32 v[28:29], 0
.LBB14_80:                              ;   in Loop: Header=BB14_34 Depth=2
	s_mov_b64 s[18:19], s[0:1]
	s_mov_b32 s22, 0
	s_cbranch_execnz .LBB14_82
.LBB14_81:                              ;   in Loop: Header=BB14_34 Depth=2
	global_load_dwordx2 v[28:29], v3, s[0:1]
	s_add_i32 s22, s5, -8
.LBB14_82:                              ;   in Loop: Header=BB14_34 Depth=2
	s_cmp_gt_u32 s22, 7
	s_cbranch_scc1 .LBB14_86
; %bb.83:                               ;   in Loop: Header=BB14_34 Depth=2
	s_cmp_eq_u32 s22, 0
	s_cbranch_scc1 .LBB14_87
; %bb.84:                               ;   in Loop: Header=BB14_34 Depth=2
	s_mov_b64 s[0:1], 0
	v_mov_b64_e32 v[30:31], 0
	s_mov_b64 s[20:21], s[18:19]
.LBB14_85:                              ;   Parent Loop BB14_4 Depth=1
                                        ;     Parent Loop BB14_34 Depth=2
                                        ; =>    This Inner Loop Header: Depth=3
	global_load_ubyte v2, v3, s[20:21]
	s_add_i32 s22, s22, -1
	s_waitcnt vmcnt(0)
	v_and_b32_e32 v2, 0xffff, v2
	v_lshlrev_b64 v[4:5], s0, v[2:3]
	s_add_u32 s0, s0, 8
	s_addc_u32 s1, s1, 0
	s_add_u32 s20, s20, 1
	s_addc_u32 s21, s21, 0
	v_or_b32_e32 v30, v4, v30
	s_cmp_lg_u32 s22, 0
	v_or_b32_e32 v31, v5, v31
	s_cbranch_scc1 .LBB14_85
	s_branch .LBB14_88
.LBB14_86:                              ;   in Loop: Header=BB14_34 Depth=2
	s_branch .LBB14_89
.LBB14_87:                              ;   in Loop: Header=BB14_34 Depth=2
	v_mov_b64_e32 v[30:31], 0
.LBB14_88:                              ;   in Loop: Header=BB14_34 Depth=2
	s_cbranch_execnz .LBB14_90
.LBB14_89:                              ;   in Loop: Header=BB14_34 Depth=2
	global_load_dwordx2 v[30:31], v3, s[18:19]
.LBB14_90:                              ;   in Loop: Header=BB14_34 Depth=2
	v_readfirstlane_b32 s0, v40
	v_mov_b64_e32 v[4:5], 0
	s_nop 0
	v_cmp_eq_u32_e64 s[0:1], s0, v40
	s_and_saveexec_b64 s[18:19], s[0:1]
	s_cbranch_execz .LBB14_96
; %bb.91:                               ;   in Loop: Header=BB14_34 Depth=2
	global_load_dwordx2 v[34:35], v3, s[12:13] offset:24 sc0 sc1
	s_waitcnt vmcnt(0)
	buffer_inv sc0 sc1
	global_load_dwordx2 v[4:5], v3, s[12:13] offset:40
	global_load_dwordx2 v[32:33], v3, s[12:13]
	s_waitcnt vmcnt(1)
	v_and_b32_e32 v2, v4, v34
	v_and_b32_e32 v4, v5, v35
	v_mul_lo_u32 v4, v4, 24
	v_mul_hi_u32 v5, v2, 24
	v_add_u32_e32 v5, v5, v4
	v_mul_lo_u32 v4, v2, 24
	s_waitcnt vmcnt(0)
	v_lshl_add_u64 v[4:5], v[32:33], 0, v[4:5]
	global_load_dwordx2 v[32:33], v[4:5], off sc0 sc1
	s_waitcnt vmcnt(0)
	global_atomic_cmpswap_x2 v[4:5], v3, v[32:35], s[12:13] offset:24 sc0 sc1
	s_waitcnt vmcnt(0)
	buffer_inv sc0 sc1
	v_cmp_ne_u64_e32 vcc, v[4:5], v[34:35]
	s_and_saveexec_b64 s[20:21], vcc
	s_cbranch_execz .LBB14_95
; %bb.92:                               ;   in Loop: Header=BB14_34 Depth=2
	s_mov_b64 s[22:23], 0
.LBB14_93:                              ;   Parent Loop BB14_4 Depth=1
                                        ;     Parent Loop BB14_34 Depth=2
                                        ; =>    This Inner Loop Header: Depth=3
	s_sleep 1
	global_load_dwordx2 v[32:33], v3, s[12:13] offset:40
	global_load_dwordx2 v[38:39], v3, s[12:13]
	v_mov_b64_e32 v[34:35], v[4:5]
	s_waitcnt vmcnt(1)
	v_and_b32_e32 v2, v32, v34
	s_waitcnt vmcnt(0)
	v_mad_u64_u32 v[4:5], s[24:25], v2, 24, v[38:39]
	v_and_b32_e32 v13, v33, v35
	v_mov_b32_e32 v2, v5
	v_mad_u64_u32 v[32:33], s[24:25], v13, 24, v[2:3]
	v_mov_b32_e32 v5, v32
	global_load_dwordx2 v[32:33], v[4:5], off sc0 sc1
	s_waitcnt vmcnt(0)
	global_atomic_cmpswap_x2 v[4:5], v3, v[32:35], s[12:13] offset:24 sc0 sc1
	s_waitcnt vmcnt(0)
	buffer_inv sc0 sc1
	v_cmp_eq_u64_e32 vcc, v[4:5], v[34:35]
	s_or_b64 s[22:23], vcc, s[22:23]
	s_andn2_b64 exec, exec, s[22:23]
	s_cbranch_execnz .LBB14_93
; %bb.94:                               ;   in Loop: Header=BB14_34 Depth=2
	s_or_b64 exec, exec, s[22:23]
.LBB14_95:                              ;   in Loop: Header=BB14_34 Depth=2
	s_or_b64 exec, exec, s[20:21]
.LBB14_96:                              ;   in Loop: Header=BB14_34 Depth=2
	s_or_b64 exec, exec, s[18:19]
	global_load_dwordx2 v[38:39], v3, s[12:13] offset:40
	global_load_dwordx4 v[32:35], v3, s[12:13]
	v_readfirstlane_b32 s19, v5
	v_readfirstlane_b32 s18, v4
	s_mov_b64 s[20:21], exec
	s_waitcnt vmcnt(1)
	v_readfirstlane_b32 s22, v38
	v_readfirstlane_b32 s23, v39
	s_and_b64 s[22:23], s[22:23], s[18:19]
	s_mul_i32 s5, s23, 24
	s_mul_hi_u32 s24, s22, 24
	s_add_i32 s25, s24, s5
	s_mul_i32 s24, s22, 24
	s_waitcnt vmcnt(0)
	v_lshl_add_u64 v[38:39], v[32:33], 0, s[24:25]
	s_and_saveexec_b64 s[24:25], s[0:1]
	s_cbranch_execz .LBB14_98
; %bb.97:                               ;   in Loop: Header=BB14_34 Depth=2
	v_mov_b64_e32 v[4:5], s[20:21]
	global_store_dwordx4 v[38:39], v[4:7], off offset:8
.LBB14_98:                              ;   in Loop: Header=BB14_34 Depth=2
	s_or_b64 exec, exec, s[24:25]
	v_cmp_lt_u64_e64 vcc, s[14:15], 57
	s_lshl_b32 s5, s16, 2
	s_lshl_b64 s[20:21], s[22:23], 12
	v_cndmask_b32_e32 v2, 0, v12, vcc
	s_add_i32 s5, s5, 28
	v_and_b32_e32 v13, 0xffffff1f, v16
	v_lshl_add_u64 v[4:5], v[34:35], 0, s[20:21]
	s_and_b32 s5, s5, 0x1e0
	v_or_b32_e32 v2, v13, v2
	v_or_b32_e32 v16, s5, v2
	v_readfirstlane_b32 s20, v4
	v_readfirstlane_b32 s21, v5
	s_nop 4
	global_store_dwordx4 v36, v[16:19], s[20:21]
	global_store_dwordx4 v36, v[20:23], s[20:21] offset:16
	global_store_dwordx4 v36, v[24:27], s[20:21] offset:32
	;; [unrolled: 1-line block ×3, first 2 shown]
	s_and_saveexec_b64 s[20:21], s[0:1]
	s_cbranch_execz .LBB14_106
; %bb.99:                               ;   in Loop: Header=BB14_34 Depth=2
	global_load_dwordx2 v[24:25], v3, s[12:13] offset:32 sc0 sc1
	global_load_dwordx2 v[16:17], v3, s[12:13] offset:40
	v_mov_b32_e32 v22, s18
	v_mov_b32_e32 v23, s19
	s_waitcnt vmcnt(0)
	v_readfirstlane_b32 s22, v16
	v_readfirstlane_b32 s23, v17
	s_and_b64 s[22:23], s[22:23], s[18:19]
	s_mul_i32 s5, s23, 24
	s_mul_hi_u32 s23, s22, 24
	s_mul_i32 s22, s22, 24
	s_add_i32 s23, s23, s5
	v_lshl_add_u64 v[20:21], v[32:33], 0, s[22:23]
	global_store_dwordx2 v[20:21], v[24:25], off
	buffer_wbl2 sc0 sc1
	s_waitcnt vmcnt(0)
	global_atomic_cmpswap_x2 v[18:19], v3, v[22:25], s[12:13] offset:32 sc0 sc1
	s_waitcnt vmcnt(0)
	v_cmp_ne_u64_e32 vcc, v[18:19], v[24:25]
	s_and_saveexec_b64 s[22:23], vcc
	s_cbranch_execz .LBB14_102
; %bb.100:                              ;   in Loop: Header=BB14_34 Depth=2
	s_mov_b64 s[24:25], 0
.LBB14_101:                             ;   Parent Loop BB14_4 Depth=1
                                        ;     Parent Loop BB14_34 Depth=2
                                        ; =>    This Inner Loop Header: Depth=3
	s_sleep 1
	global_store_dwordx2 v[20:21], v[18:19], off
	v_mov_b32_e32 v16, s18
	v_mov_b32_e32 v17, s19
	buffer_wbl2 sc0 sc1
	s_waitcnt vmcnt(0)
	global_atomic_cmpswap_x2 v[16:17], v3, v[16:19], s[12:13] offset:32 sc0 sc1
	s_waitcnt vmcnt(0)
	v_cmp_eq_u64_e32 vcc, v[16:17], v[18:19]
	s_or_b64 s[24:25], vcc, s[24:25]
	v_mov_b64_e32 v[18:19], v[16:17]
	s_andn2_b64 exec, exec, s[24:25]
	s_cbranch_execnz .LBB14_101
.LBB14_102:                             ;   in Loop: Header=BB14_34 Depth=2
	s_or_b64 exec, exec, s[22:23]
	global_load_dwordx2 v[16:17], v3, s[12:13] offset:16
	s_mov_b64 s[24:25], exec
	v_mbcnt_lo_u32_b32 v2, s24, 0
	v_mbcnt_hi_u32_b32 v2, s25, v2
	v_cmp_eq_u32_e32 vcc, 0, v2
	s_and_saveexec_b64 s[22:23], vcc
	s_cbranch_execz .LBB14_104
; %bb.103:                              ;   in Loop: Header=BB14_34 Depth=2
	s_bcnt1_i32_b64 s5, s[24:25]
	v_mov_b32_e32 v2, s5
	buffer_wbl2 sc0 sc1
	s_waitcnt vmcnt(0)
	global_atomic_add_x2 v[16:17], v[2:3], off offset:8 sc1
.LBB14_104:                             ;   in Loop: Header=BB14_34 Depth=2
	s_or_b64 exec, exec, s[22:23]
	s_waitcnt vmcnt(0)
	global_load_dwordx2 v[18:19], v[16:17], off offset:16
	s_waitcnt vmcnt(0)
	v_cmp_eq_u64_e32 vcc, 0, v[18:19]
	s_cbranch_vccnz .LBB14_106
; %bb.105:                              ;   in Loop: Header=BB14_34 Depth=2
	global_load_dword v2, v[16:17], off offset:24
	s_waitcnt vmcnt(0)
	v_readfirstlane_b32 s5, v2
	s_and_b32 m0, s5, 0xffffff
	buffer_wbl2 sc0 sc1
	global_store_dwordx2 v[18:19], v[2:3], off sc0 sc1
	s_sendmsg sendmsg(MSG_INTERRUPT)
.LBB14_106:                             ;   in Loop: Header=BB14_34 Depth=2
	s_or_b64 exec, exec, s[20:21]
	v_mov_b32_e32 v37, v3
	v_lshl_add_u64 v[4:5], v[4:5], 0, v[36:37]
	s_branch .LBB14_110
.LBB14_107:                             ;   in Loop: Header=BB14_110 Depth=3
	s_or_b64 exec, exec, s[20:21]
	v_readfirstlane_b32 s5, v2
	s_cmp_eq_u32 s5, 0
	s_cbranch_scc1 .LBB14_109
; %bb.108:                              ;   in Loop: Header=BB14_110 Depth=3
	s_sleep 1
	s_cbranch_execnz .LBB14_110
	s_branch .LBB14_112
.LBB14_109:                             ;   in Loop: Header=BB14_34 Depth=2
	s_branch .LBB14_112
.LBB14_110:                             ;   Parent Loop BB14_4 Depth=1
                                        ;     Parent Loop BB14_34 Depth=2
                                        ; =>    This Inner Loop Header: Depth=3
	v_mov_b32_e32 v2, 1
	s_and_saveexec_b64 s[20:21], s[0:1]
	s_cbranch_execz .LBB14_107
; %bb.111:                              ;   in Loop: Header=BB14_110 Depth=3
	global_load_dword v2, v[38:39], off offset:20 sc0 sc1
	s_waitcnt vmcnt(0)
	buffer_inv sc0 sc1
	v_and_b32_e32 v2, 1, v2
	s_branch .LBB14_107
.LBB14_112:                             ;   in Loop: Header=BB14_34 Depth=2
	global_load_dwordx2 v[16:17], v[4:5], off
	s_and_saveexec_b64 s[20:21], s[0:1]
	s_cbranch_execz .LBB14_33
; %bb.113:                              ;   in Loop: Header=BB14_34 Depth=2
	global_load_dwordx2 v[4:5], v3, s[12:13] offset:40
	global_load_dwordx2 v[22:23], v3, s[12:13] offset:24 sc0 sc1
	global_load_dwordx2 v[18:19], v3, s[12:13]
	s_waitcnt vmcnt(2)
	v_readfirstlane_b32 s22, v4
	v_readfirstlane_b32 s23, v5
	s_add_u32 s5, s22, 1
	s_addc_u32 s24, s23, 0
	s_add_u32 s0, s5, s18
	s_addc_u32 s1, s24, s19
	s_cmp_eq_u64 s[0:1], 0
	s_cselect_b32 s1, s24, s1
	s_cselect_b32 s0, s5, s0
	s_and_b64 s[18:19], s[0:1], s[22:23]
	s_mul_i32 s5, s19, 24
	s_mul_hi_u32 s19, s18, 24
	s_mul_i32 s18, s18, 24
	s_add_i32 s19, s19, s5
	s_waitcnt vmcnt(0)
	v_lshl_add_u64 v[4:5], v[18:19], 0, s[18:19]
	v_mov_b32_e32 v20, s0
	global_store_dwordx2 v[4:5], v[22:23], off
	v_mov_b32_e32 v21, s1
	buffer_wbl2 sc0 sc1
	s_waitcnt vmcnt(0)
	global_atomic_cmpswap_x2 v[20:21], v3, v[20:23], s[12:13] offset:24 sc0 sc1
	s_waitcnt vmcnt(0)
	v_cmp_ne_u64_e32 vcc, v[20:21], v[22:23]
	s_and_b64 exec, exec, vcc
	s_cbranch_execz .LBB14_33
; %bb.114:                              ;   in Loop: Header=BB14_34 Depth=2
	s_mov_b64 s[18:19], 0
.LBB14_115:                             ;   Parent Loop BB14_4 Depth=1
                                        ;     Parent Loop BB14_34 Depth=2
                                        ; =>    This Inner Loop Header: Depth=3
	s_sleep 1
	global_store_dwordx2 v[4:5], v[20:21], off
	v_mov_b32_e32 v18, s0
	v_mov_b32_e32 v19, s1
	buffer_wbl2 sc0 sc1
	s_waitcnt vmcnt(0)
	global_atomic_cmpswap_x2 v[18:19], v3, v[18:21], s[12:13] offset:24 sc0 sc1
	s_waitcnt vmcnt(0)
	v_cmp_eq_u64_e32 vcc, v[18:19], v[20:21]
	s_or_b64 s[18:19], vcc, s[18:19]
	v_mov_b64_e32 v[20:21], v[18:19]
	s_andn2_b64 exec, exec, s[18:19]
	s_cbranch_execnz .LBB14_115
	s_branch .LBB14_33
.LBB14_116:                             ;   in Loop: Header=BB14_4 Depth=1
	s_branch .LBB14_145
.LBB14_117:                             ;   in Loop: Header=BB14_4 Depth=1
                                        ; implicit-def: $vgpr16_vgpr17
	s_cbranch_execz .LBB14_145
; %bb.118:                              ;   in Loop: Header=BB14_4 Depth=1
	v_readfirstlane_b32 s0, v40
	v_mov_b64_e32 v[4:5], 0
	s_nop 0
	v_cmp_eq_u32_e64 s[0:1], s0, v40
	s_and_saveexec_b64 s[6:7], s[0:1]
	s_cbranch_execz .LBB14_124
; %bb.119:                              ;   in Loop: Header=BB14_4 Depth=1
	global_load_dwordx2 v[18:19], v3, s[12:13] offset:24 sc0 sc1
	s_waitcnt vmcnt(0)
	buffer_inv sc0 sc1
	global_load_dwordx2 v[4:5], v3, s[12:13] offset:40
	global_load_dwordx2 v[12:13], v3, s[12:13]
	s_waitcnt vmcnt(1)
	v_and_b32_e32 v2, v4, v18
	v_and_b32_e32 v4, v5, v19
	v_mul_lo_u32 v4, v4, 24
	v_mul_hi_u32 v5, v2, 24
	v_add_u32_e32 v5, v5, v4
	v_mul_lo_u32 v4, v2, 24
	s_waitcnt vmcnt(0)
	v_lshl_add_u64 v[4:5], v[12:13], 0, v[4:5]
	global_load_dwordx2 v[16:17], v[4:5], off sc0 sc1
	s_waitcnt vmcnt(0)
	global_atomic_cmpswap_x2 v[4:5], v3, v[16:19], s[12:13] offset:24 sc0 sc1
	s_waitcnt vmcnt(0)
	buffer_inv sc0 sc1
	v_cmp_ne_u64_e32 vcc, v[4:5], v[18:19]
	s_and_saveexec_b64 s[14:15], vcc
	s_cbranch_execz .LBB14_123
; %bb.120:                              ;   in Loop: Header=BB14_4 Depth=1
	s_mov_b64 s[16:17], 0
.LBB14_121:                             ;   Parent Loop BB14_4 Depth=1
                                        ; =>  This Inner Loop Header: Depth=2
	s_sleep 1
	global_load_dwordx2 v[12:13], v3, s[12:13] offset:40
	global_load_dwordx2 v[16:17], v3, s[12:13]
	v_mov_b64_e32 v[18:19], v[4:5]
	s_waitcnt vmcnt(1)
	v_and_b32_e32 v2, v12, v18
	s_waitcnt vmcnt(0)
	v_mad_u64_u32 v[4:5], s[18:19], v2, 24, v[16:17]
	v_and_b32_e32 v13, v13, v19
	v_mov_b32_e32 v2, v5
	v_mad_u64_u32 v[12:13], s[18:19], v13, 24, v[2:3]
	v_mov_b32_e32 v5, v12
	global_load_dwordx2 v[16:17], v[4:5], off sc0 sc1
	s_waitcnt vmcnt(0)
	global_atomic_cmpswap_x2 v[4:5], v3, v[16:19], s[12:13] offset:24 sc0 sc1
	s_waitcnt vmcnt(0)
	buffer_inv sc0 sc1
	v_cmp_eq_u64_e32 vcc, v[4:5], v[18:19]
	s_or_b64 s[16:17], vcc, s[16:17]
	s_andn2_b64 exec, exec, s[16:17]
	s_cbranch_execnz .LBB14_121
; %bb.122:                              ;   in Loop: Header=BB14_4 Depth=1
	s_or_b64 exec, exec, s[16:17]
.LBB14_123:                             ;   in Loop: Header=BB14_4 Depth=1
	s_or_b64 exec, exec, s[14:15]
.LBB14_124:                             ;   in Loop: Header=BB14_4 Depth=1
	s_or_b64 exec, exec, s[6:7]
	global_load_dwordx2 v[12:13], v3, s[12:13] offset:40
	global_load_dwordx4 v[16:19], v3, s[12:13]
	v_readfirstlane_b32 s15, v5
	v_readfirstlane_b32 s14, v4
	s_mov_b64 s[6:7], exec
	s_waitcnt vmcnt(1)
	v_readfirstlane_b32 s16, v12
	v_readfirstlane_b32 s17, v13
	s_and_b64 s[16:17], s[16:17], s[14:15]
	s_mul_i32 s5, s17, 24
	s_mul_hi_u32 s18, s16, 24
	s_add_i32 s19, s18, s5
	s_mul_i32 s18, s16, 24
	s_waitcnt vmcnt(0)
	v_lshl_add_u64 v[12:13], v[16:17], 0, s[18:19]
	s_and_saveexec_b64 s[18:19], s[0:1]
	s_cbranch_execz .LBB14_126
; %bb.125:                              ;   in Loop: Header=BB14_4 Depth=1
	v_mov_b64_e32 v[4:5], s[6:7]
	global_store_dwordx4 v[12:13], v[4:7], off offset:8
.LBB14_126:                             ;   in Loop: Header=BB14_4 Depth=1
	s_or_b64 exec, exec, s[18:19]
	s_lshl_b64 s[6:7], s[16:17], 12
	v_lshl_add_u64 v[4:5], v[18:19], 0, s[6:7]
	s_mov_b32 s6, s4
	s_mov_b32 s7, s4
	s_mov_b32 s5, s4
	v_mov_b64_e32 v[20:21], s[6:7]
	v_and_or_b32 v0, v0, s28, 32
	v_mov_b32_e32 v2, v3
	v_readfirstlane_b32 s16, v4
	v_readfirstlane_b32 s17, v5
	v_mov_b64_e32 v[18:19], s[4:5]
	s_nop 3
	global_store_dwordx4 v36, v[0:3], s[16:17]
	global_store_dwordx4 v36, v[18:21], s[16:17] offset:16
	global_store_dwordx4 v36, v[18:21], s[16:17] offset:32
	;; [unrolled: 1-line block ×3, first 2 shown]
	s_and_saveexec_b64 s[6:7], s[0:1]
	s_cbranch_execz .LBB14_134
; %bb.127:                              ;   in Loop: Header=BB14_4 Depth=1
	global_load_dwordx2 v[20:21], v3, s[12:13] offset:32 sc0 sc1
	global_load_dwordx2 v[0:1], v3, s[12:13] offset:40
	v_mov_b32_e32 v18, s14
	v_mov_b32_e32 v19, s15
	s_waitcnt vmcnt(0)
	v_readfirstlane_b32 s16, v0
	v_readfirstlane_b32 s17, v1
	s_and_b64 s[16:17], s[16:17], s[14:15]
	s_mul_i32 s5, s17, 24
	s_mul_hi_u32 s17, s16, 24
	s_mul_i32 s16, s16, 24
	s_add_i32 s17, s17, s5
	v_lshl_add_u64 v[0:1], v[16:17], 0, s[16:17]
	global_store_dwordx2 v[0:1], v[20:21], off
	buffer_wbl2 sc0 sc1
	s_waitcnt vmcnt(0)
	global_atomic_cmpswap_x2 v[18:19], v3, v[18:21], s[12:13] offset:32 sc0 sc1
	s_waitcnt vmcnt(0)
	v_cmp_ne_u64_e32 vcc, v[18:19], v[20:21]
	s_and_saveexec_b64 s[16:17], vcc
	s_cbranch_execz .LBB14_130
; %bb.128:                              ;   in Loop: Header=BB14_4 Depth=1
	s_mov_b64 s[18:19], 0
.LBB14_129:                             ;   Parent Loop BB14_4 Depth=1
                                        ; =>  This Inner Loop Header: Depth=2
	s_sleep 1
	global_store_dwordx2 v[0:1], v[18:19], off
	v_mov_b32_e32 v16, s14
	v_mov_b32_e32 v17, s15
	buffer_wbl2 sc0 sc1
	s_waitcnt vmcnt(0)
	global_atomic_cmpswap_x2 v[16:17], v3, v[16:19], s[12:13] offset:32 sc0 sc1
	s_waitcnt vmcnt(0)
	v_cmp_eq_u64_e32 vcc, v[16:17], v[18:19]
	s_or_b64 s[18:19], vcc, s[18:19]
	v_mov_b64_e32 v[18:19], v[16:17]
	s_andn2_b64 exec, exec, s[18:19]
	s_cbranch_execnz .LBB14_129
.LBB14_130:                             ;   in Loop: Header=BB14_4 Depth=1
	s_or_b64 exec, exec, s[16:17]
	global_load_dwordx2 v[0:1], v3, s[12:13] offset:16
	s_mov_b64 s[18:19], exec
	v_mbcnt_lo_u32_b32 v2, s18, 0
	v_mbcnt_hi_u32_b32 v2, s19, v2
	v_cmp_eq_u32_e32 vcc, 0, v2
	s_and_saveexec_b64 s[16:17], vcc
	s_cbranch_execz .LBB14_132
; %bb.131:                              ;   in Loop: Header=BB14_4 Depth=1
	s_bcnt1_i32_b64 s5, s[18:19]
	v_mov_b32_e32 v2, s5
	buffer_wbl2 sc0 sc1
	s_waitcnt vmcnt(0)
	global_atomic_add_x2 v[0:1], v[2:3], off offset:8 sc1
.LBB14_132:                             ;   in Loop: Header=BB14_4 Depth=1
	s_or_b64 exec, exec, s[16:17]
	s_waitcnt vmcnt(0)
	global_load_dwordx2 v[16:17], v[0:1], off offset:16
	s_waitcnt vmcnt(0)
	v_cmp_eq_u64_e32 vcc, 0, v[16:17]
	s_cbranch_vccnz .LBB14_134
; %bb.133:                              ;   in Loop: Header=BB14_4 Depth=1
	global_load_dword v2, v[0:1], off offset:24
	s_waitcnt vmcnt(0)
	v_readfirstlane_b32 s5, v2
	s_and_b32 m0, s5, 0xffffff
	buffer_wbl2 sc0 sc1
	global_store_dwordx2 v[16:17], v[2:3], off sc0 sc1
	s_sendmsg sendmsg(MSG_INTERRUPT)
.LBB14_134:                             ;   in Loop: Header=BB14_4 Depth=1
	s_or_b64 exec, exec, s[6:7]
	v_mov_b32_e32 v37, v3
	v_lshl_add_u64 v[0:1], v[4:5], 0, v[36:37]
	s_branch .LBB14_138
.LBB14_135:                             ;   in Loop: Header=BB14_138 Depth=2
	s_or_b64 exec, exec, s[6:7]
	v_readfirstlane_b32 s5, v2
	s_cmp_eq_u32 s5, 0
	s_cbranch_scc1 .LBB14_137
; %bb.136:                              ;   in Loop: Header=BB14_138 Depth=2
	s_sleep 1
	s_cbranch_execnz .LBB14_138
	s_branch .LBB14_140
.LBB14_137:                             ;   in Loop: Header=BB14_4 Depth=1
	s_branch .LBB14_140
.LBB14_138:                             ;   Parent Loop BB14_4 Depth=1
                                        ; =>  This Inner Loop Header: Depth=2
	v_mov_b32_e32 v2, 1
	s_and_saveexec_b64 s[6:7], s[0:1]
	s_cbranch_execz .LBB14_135
; %bb.139:                              ;   in Loop: Header=BB14_138 Depth=2
	global_load_dword v2, v[12:13], off offset:20 sc0 sc1
	s_waitcnt vmcnt(0)
	buffer_inv sc0 sc1
	v_and_b32_e32 v2, 1, v2
	s_branch .LBB14_135
.LBB14_140:                             ;   in Loop: Header=BB14_4 Depth=1
	global_load_dwordx2 v[16:17], v[0:1], off
	s_and_saveexec_b64 s[6:7], s[0:1]
	s_cbranch_execz .LBB14_144
; %bb.141:                              ;   in Loop: Header=BB14_4 Depth=1
	global_load_dwordx2 v[0:1], v3, s[12:13] offset:40
	global_load_dwordx2 v[22:23], v3, s[12:13] offset:24 sc0 sc1
	global_load_dwordx2 v[4:5], v3, s[12:13]
	s_waitcnt vmcnt(2)
	v_readfirstlane_b32 s16, v0
	v_readfirstlane_b32 s17, v1
	s_add_u32 s5, s16, 1
	s_addc_u32 s18, s17, 0
	s_add_u32 s0, s5, s14
	s_addc_u32 s1, s18, s15
	s_cmp_eq_u64 s[0:1], 0
	s_cselect_b32 s1, s18, s1
	s_cselect_b32 s0, s5, s0
	s_and_b64 s[14:15], s[0:1], s[16:17]
	s_mul_i32 s5, s15, 24
	s_mul_hi_u32 s15, s14, 24
	s_mul_i32 s14, s14, 24
	s_add_i32 s15, s15, s5
	s_waitcnt vmcnt(0)
	v_lshl_add_u64 v[0:1], v[4:5], 0, s[14:15]
	v_mov_b32_e32 v20, s0
	global_store_dwordx2 v[0:1], v[22:23], off
	v_mov_b32_e32 v21, s1
	buffer_wbl2 sc0 sc1
	s_waitcnt vmcnt(0)
	global_atomic_cmpswap_x2 v[20:21], v3, v[20:23], s[12:13] offset:24 sc0 sc1
	s_waitcnt vmcnt(0)
	v_cmp_ne_u64_e32 vcc, v[20:21], v[22:23]
	s_and_b64 exec, exec, vcc
	s_cbranch_execz .LBB14_144
; %bb.142:                              ;   in Loop: Header=BB14_4 Depth=1
	s_mov_b64 s[14:15], 0
.LBB14_143:                             ;   Parent Loop BB14_4 Depth=1
                                        ; =>  This Inner Loop Header: Depth=2
	s_sleep 1
	global_store_dwordx2 v[0:1], v[20:21], off
	v_mov_b32_e32 v18, s0
	v_mov_b32_e32 v19, s1
	buffer_wbl2 sc0 sc1
	s_waitcnt vmcnt(0)
	global_atomic_cmpswap_x2 v[4:5], v3, v[18:21], s[12:13] offset:24 sc0 sc1
	s_waitcnt vmcnt(0)
	v_cmp_eq_u64_e32 vcc, v[4:5], v[20:21]
	s_or_b64 s[14:15], vcc, s[14:15]
	v_mov_b64_e32 v[20:21], v[4:5]
	s_andn2_b64 exec, exec, s[14:15]
	s_cbranch_execnz .LBB14_143
.LBB14_144:                             ;   in Loop: Header=BB14_4 Depth=1
	s_or_b64 exec, exec, s[6:7]
.LBB14_145:                             ;   in Loop: Header=BB14_4 Depth=1
	v_readfirstlane_b32 s0, v40
	s_waitcnt vmcnt(0)
	v_mov_b64_e32 v[0:1], 0
	v_cmp_eq_u32_e64 s[0:1], s0, v40
	s_and_saveexec_b64 s[6:7], s[0:1]
	s_cbranch_execz .LBB14_151
; %bb.146:                              ;   in Loop: Header=BB14_4 Depth=1
	global_load_dwordx2 v[20:21], v3, s[12:13] offset:24 sc0 sc1
	s_waitcnt vmcnt(0)
	buffer_inv sc0 sc1
	global_load_dwordx2 v[0:1], v3, s[12:13] offset:40
	global_load_dwordx2 v[4:5], v3, s[12:13]
	s_waitcnt vmcnt(1)
	v_and_b32_e32 v0, v0, v20
	v_and_b32_e32 v1, v1, v21
	v_mul_lo_u32 v1, v1, 24
	v_mul_hi_u32 v2, v0, 24
	v_add_u32_e32 v1, v2, v1
	v_mul_lo_u32 v0, v0, 24
	s_waitcnt vmcnt(0)
	v_lshl_add_u64 v[0:1], v[4:5], 0, v[0:1]
	global_load_dwordx2 v[18:19], v[0:1], off sc0 sc1
	s_waitcnt vmcnt(0)
	global_atomic_cmpswap_x2 v[0:1], v3, v[18:21], s[12:13] offset:24 sc0 sc1
	s_waitcnt vmcnt(0)
	buffer_inv sc0 sc1
	v_cmp_ne_u64_e32 vcc, v[0:1], v[20:21]
	s_and_saveexec_b64 s[14:15], vcc
	s_cbranch_execz .LBB14_150
; %bb.147:                              ;   in Loop: Header=BB14_4 Depth=1
	s_mov_b64 s[16:17], 0
.LBB14_148:                             ;   Parent Loop BB14_4 Depth=1
                                        ; =>  This Inner Loop Header: Depth=2
	s_sleep 1
	global_load_dwordx2 v[4:5], v3, s[12:13] offset:40
	global_load_dwordx2 v[12:13], v3, s[12:13]
	v_mov_b64_e32 v[20:21], v[0:1]
	s_waitcnt vmcnt(1)
	v_and_b32_e32 v0, v4, v20
	s_waitcnt vmcnt(0)
	v_mad_u64_u32 v[0:1], s[18:19], v0, 24, v[12:13]
	v_and_b32_e32 v5, v5, v21
	v_mov_b32_e32 v2, v1
	v_mad_u64_u32 v[4:5], s[18:19], v5, 24, v[2:3]
	v_mov_b32_e32 v1, v4
	global_load_dwordx2 v[18:19], v[0:1], off sc0 sc1
	s_waitcnt vmcnt(0)
	global_atomic_cmpswap_x2 v[0:1], v3, v[18:21], s[12:13] offset:24 sc0 sc1
	s_waitcnt vmcnt(0)
	buffer_inv sc0 sc1
	v_cmp_eq_u64_e32 vcc, v[0:1], v[20:21]
	s_or_b64 s[16:17], vcc, s[16:17]
	s_andn2_b64 exec, exec, s[16:17]
	s_cbranch_execnz .LBB14_148
; %bb.149:                              ;   in Loop: Header=BB14_4 Depth=1
	s_or_b64 exec, exec, s[16:17]
.LBB14_150:                             ;   in Loop: Header=BB14_4 Depth=1
	s_or_b64 exec, exec, s[14:15]
.LBB14_151:                             ;   in Loop: Header=BB14_4 Depth=1
	s_or_b64 exec, exec, s[6:7]
	global_load_dwordx2 v[4:5], v3, s[12:13] offset:40
	global_load_dwordx4 v[20:23], v3, s[12:13]
	v_readfirstlane_b32 s15, v1
	v_readfirstlane_b32 s14, v0
	s_mov_b64 s[6:7], exec
	s_waitcnt vmcnt(1)
	v_readfirstlane_b32 s16, v4
	v_readfirstlane_b32 s17, v5
	s_and_b64 s[16:17], s[16:17], s[14:15]
	s_mul_i32 s5, s17, 24
	s_mul_hi_u32 s18, s16, 24
	s_add_i32 s19, s18, s5
	s_mul_i32 s18, s16, 24
	s_waitcnt vmcnt(0)
	v_lshl_add_u64 v[0:1], v[20:21], 0, s[18:19]
	s_and_saveexec_b64 s[18:19], s[0:1]
	s_cbranch_execz .LBB14_153
; %bb.152:                              ;   in Loop: Header=BB14_4 Depth=1
	v_mov_b64_e32 v[4:5], s[6:7]
	global_store_dwordx4 v[0:1], v[4:7], off offset:8
.LBB14_153:                             ;   in Loop: Header=BB14_4 Depth=1
	s_or_b64 exec, exec, s[18:19]
	s_lshl_b64 s[6:7], s[16:17], 12
	v_lshl_add_u64 v[4:5], v[22:23], 0, s[6:7]
	v_and_or_b32 v16, v16, s28, 32
	v_mov_b32_e32 v18, s27
	v_mov_b32_e32 v19, v3
	v_readfirstlane_b32 s16, v4
	v_readfirstlane_b32 s17, v5
	s_mov_b32 s6, s4
	s_mov_b32 s7, s4
	;; [unrolled: 1-line block ×3, first 2 shown]
	s_nop 1
	global_store_dwordx4 v36, v[16:19], s[16:17]
	s_nop 1
	v_mov_b64_e32 v[18:19], s[6:7]
	v_mov_b64_e32 v[16:17], s[4:5]
	global_store_dwordx4 v36, v[16:19], s[16:17] offset:16
	global_store_dwordx4 v36, v[16:19], s[16:17] offset:32
	;; [unrolled: 1-line block ×3, first 2 shown]
	s_and_saveexec_b64 s[6:7], s[0:1]
	s_cbranch_execz .LBB14_161
; %bb.154:                              ;   in Loop: Header=BB14_4 Depth=1
	global_load_dwordx2 v[24:25], v3, s[12:13] offset:32 sc0 sc1
	global_load_dwordx2 v[12:13], v3, s[12:13] offset:40
	v_mov_b32_e32 v22, s14
	v_mov_b32_e32 v23, s15
	s_waitcnt vmcnt(0)
	v_readfirstlane_b32 s16, v12
	v_readfirstlane_b32 s17, v13
	s_and_b64 s[16:17], s[16:17], s[14:15]
	s_mul_i32 s5, s17, 24
	s_mul_hi_u32 s17, s16, 24
	s_mul_i32 s16, s16, 24
	s_add_i32 s17, s17, s5
	v_lshl_add_u64 v[12:13], v[20:21], 0, s[16:17]
	global_store_dwordx2 v[12:13], v[24:25], off
	buffer_wbl2 sc0 sc1
	s_waitcnt vmcnt(0)
	global_atomic_cmpswap_x2 v[18:19], v3, v[22:25], s[12:13] offset:32 sc0 sc1
	s_waitcnt vmcnt(0)
	v_cmp_ne_u64_e32 vcc, v[18:19], v[24:25]
	s_and_saveexec_b64 s[16:17], vcc
	s_cbranch_execz .LBB14_157
; %bb.155:                              ;   in Loop: Header=BB14_4 Depth=1
	s_mov_b64 s[18:19], 0
.LBB14_156:                             ;   Parent Loop BB14_4 Depth=1
                                        ; =>  This Inner Loop Header: Depth=2
	s_sleep 1
	global_store_dwordx2 v[12:13], v[18:19], off
	v_mov_b32_e32 v16, s14
	v_mov_b32_e32 v17, s15
	buffer_wbl2 sc0 sc1
	s_waitcnt vmcnt(0)
	global_atomic_cmpswap_x2 v[16:17], v3, v[16:19], s[12:13] offset:32 sc0 sc1
	s_waitcnt vmcnt(0)
	v_cmp_eq_u64_e32 vcc, v[16:17], v[18:19]
	s_or_b64 s[18:19], vcc, s[18:19]
	v_mov_b64_e32 v[18:19], v[16:17]
	s_andn2_b64 exec, exec, s[18:19]
	s_cbranch_execnz .LBB14_156
.LBB14_157:                             ;   in Loop: Header=BB14_4 Depth=1
	s_or_b64 exec, exec, s[16:17]
	global_load_dwordx2 v[12:13], v3, s[12:13] offset:16
	s_mov_b64 s[18:19], exec
	v_mbcnt_lo_u32_b32 v2, s18, 0
	v_mbcnt_hi_u32_b32 v2, s19, v2
	v_cmp_eq_u32_e32 vcc, 0, v2
	s_and_saveexec_b64 s[16:17], vcc
	s_cbranch_execz .LBB14_159
; %bb.158:                              ;   in Loop: Header=BB14_4 Depth=1
	s_bcnt1_i32_b64 s5, s[18:19]
	v_mov_b32_e32 v2, s5
	buffer_wbl2 sc0 sc1
	s_waitcnt vmcnt(0)
	global_atomic_add_x2 v[12:13], v[2:3], off offset:8 sc1
.LBB14_159:                             ;   in Loop: Header=BB14_4 Depth=1
	s_or_b64 exec, exec, s[16:17]
	s_waitcnt vmcnt(0)
	global_load_dwordx2 v[16:17], v[12:13], off offset:16
	s_waitcnt vmcnt(0)
	v_cmp_eq_u64_e32 vcc, 0, v[16:17]
	s_cbranch_vccnz .LBB14_161
; %bb.160:                              ;   in Loop: Header=BB14_4 Depth=1
	global_load_dword v2, v[12:13], off offset:24
	s_waitcnt vmcnt(0)
	v_readfirstlane_b32 s5, v2
	s_and_b32 m0, s5, 0xffffff
	buffer_wbl2 sc0 sc1
	global_store_dwordx2 v[16:17], v[2:3], off sc0 sc1
	s_sendmsg sendmsg(MSG_INTERRUPT)
.LBB14_161:                             ;   in Loop: Header=BB14_4 Depth=1
	s_or_b64 exec, exec, s[6:7]
	v_mov_b32_e32 v37, v3
	v_lshl_add_u64 v[4:5], v[4:5], 0, v[36:37]
	s_branch .LBB14_165
.LBB14_162:                             ;   in Loop: Header=BB14_165 Depth=2
	s_or_b64 exec, exec, s[6:7]
	v_readfirstlane_b32 s5, v2
	s_cmp_eq_u32 s5, 0
	s_cbranch_scc1 .LBB14_164
; %bb.163:                              ;   in Loop: Header=BB14_165 Depth=2
	s_sleep 1
	s_cbranch_execnz .LBB14_165
	s_branch .LBB14_167
.LBB14_164:                             ;   in Loop: Header=BB14_4 Depth=1
	s_branch .LBB14_167
.LBB14_165:                             ;   Parent Loop BB14_4 Depth=1
                                        ; =>  This Inner Loop Header: Depth=2
	v_mov_b32_e32 v2, 1
	s_and_saveexec_b64 s[6:7], s[0:1]
	s_cbranch_execz .LBB14_162
; %bb.166:                              ;   in Loop: Header=BB14_165 Depth=2
	global_load_dword v2, v[0:1], off offset:20 sc0 sc1
	s_waitcnt vmcnt(0)
	buffer_inv sc0 sc1
	v_and_b32_e32 v2, 1, v2
	s_branch .LBB14_162
.LBB14_167:                             ;   in Loop: Header=BB14_4 Depth=1
	global_load_dwordx2 v[0:1], v[4:5], off
	s_and_saveexec_b64 s[6:7], s[0:1]
	s_cbranch_execz .LBB14_171
; %bb.168:                              ;   in Loop: Header=BB14_4 Depth=1
	global_load_dwordx2 v[4:5], v3, s[12:13] offset:40
	global_load_dwordx2 v[20:21], v3, s[12:13] offset:24 sc0 sc1
	global_load_dwordx2 v[12:13], v3, s[12:13]
	s_waitcnt vmcnt(2)
	v_readfirstlane_b32 s16, v4
	v_readfirstlane_b32 s17, v5
	s_add_u32 s5, s16, 1
	s_addc_u32 s18, s17, 0
	s_add_u32 s0, s5, s14
	s_addc_u32 s1, s18, s15
	s_cmp_eq_u64 s[0:1], 0
	s_cselect_b32 s1, s18, s1
	s_cselect_b32 s0, s5, s0
	s_and_b64 s[14:15], s[0:1], s[16:17]
	s_mul_i32 s5, s15, 24
	s_mul_hi_u32 s15, s14, 24
	s_mul_i32 s14, s14, 24
	s_add_i32 s15, s15, s5
	s_waitcnt vmcnt(0)
	v_lshl_add_u64 v[4:5], v[12:13], 0, s[14:15]
	v_mov_b32_e32 v18, s0
	global_store_dwordx2 v[4:5], v[20:21], off
	v_mov_b32_e32 v19, s1
	buffer_wbl2 sc0 sc1
	s_waitcnt vmcnt(0)
	global_atomic_cmpswap_x2 v[18:19], v3, v[18:21], s[12:13] offset:24 sc0 sc1
	s_waitcnt vmcnt(0)
	v_cmp_ne_u64_e32 vcc, v[18:19], v[20:21]
	s_and_b64 exec, exec, vcc
	s_cbranch_execz .LBB14_171
; %bb.169:                              ;   in Loop: Header=BB14_4 Depth=1
	s_mov_b64 s[14:15], 0
.LBB14_170:                             ;   Parent Loop BB14_4 Depth=1
                                        ; =>  This Inner Loop Header: Depth=2
	s_sleep 1
	global_store_dwordx2 v[4:5], v[18:19], off
	v_mov_b32_e32 v16, s0
	v_mov_b32_e32 v17, s1
	buffer_wbl2 sc0 sc1
	s_waitcnt vmcnt(0)
	global_atomic_cmpswap_x2 v[12:13], v3, v[16:19], s[12:13] offset:24 sc0 sc1
	s_waitcnt vmcnt(0)
	v_cmp_eq_u64_e32 vcc, v[12:13], v[18:19]
	s_or_b64 s[14:15], vcc, s[14:15]
	v_mov_b64_e32 v[18:19], v[12:13]
	s_andn2_b64 exec, exec, s[14:15]
	s_cbranch_execnz .LBB14_170
.LBB14_171:                             ;   in Loop: Header=BB14_4 Depth=1
	s_or_b64 exec, exec, s[6:7]
	v_readfirstlane_b32 s0, v40
	v_mov_b64_e32 v[4:5], 0
	s_nop 0
	v_cmp_eq_u32_e64 s[0:1], s0, v40
	s_and_saveexec_b64 s[6:7], s[0:1]
	s_cbranch_execz .LBB14_177
; %bb.172:                              ;   in Loop: Header=BB14_4 Depth=1
	global_load_dwordx2 v[18:19], v3, s[12:13] offset:24 sc0 sc1
	s_waitcnt vmcnt(0)
	buffer_inv sc0 sc1
	global_load_dwordx2 v[4:5], v3, s[12:13] offset:40
	global_load_dwordx2 v[12:13], v3, s[12:13]
	s_waitcnt vmcnt(1)
	v_and_b32_e32 v2, v4, v18
	v_and_b32_e32 v4, v5, v19
	v_mul_lo_u32 v4, v4, 24
	v_mul_hi_u32 v5, v2, 24
	v_add_u32_e32 v5, v5, v4
	v_mul_lo_u32 v4, v2, 24
	s_waitcnt vmcnt(0)
	v_lshl_add_u64 v[4:5], v[12:13], 0, v[4:5]
	global_load_dwordx2 v[16:17], v[4:5], off sc0 sc1
	s_waitcnt vmcnt(0)
	global_atomic_cmpswap_x2 v[4:5], v3, v[16:19], s[12:13] offset:24 sc0 sc1
	s_waitcnt vmcnt(0)
	buffer_inv sc0 sc1
	v_cmp_ne_u64_e32 vcc, v[4:5], v[18:19]
	s_and_saveexec_b64 s[14:15], vcc
	s_cbranch_execz .LBB14_176
; %bb.173:                              ;   in Loop: Header=BB14_4 Depth=1
	s_mov_b64 s[16:17], 0
.LBB14_174:                             ;   Parent Loop BB14_4 Depth=1
                                        ; =>  This Inner Loop Header: Depth=2
	s_sleep 1
	global_load_dwordx2 v[12:13], v3, s[12:13] offset:40
	global_load_dwordx2 v[16:17], v3, s[12:13]
	v_mov_b64_e32 v[18:19], v[4:5]
	s_waitcnt vmcnt(1)
	v_and_b32_e32 v2, v12, v18
	s_waitcnt vmcnt(0)
	v_mad_u64_u32 v[4:5], s[18:19], v2, 24, v[16:17]
	v_and_b32_e32 v13, v13, v19
	v_mov_b32_e32 v2, v5
	v_mad_u64_u32 v[12:13], s[18:19], v13, 24, v[2:3]
	v_mov_b32_e32 v5, v12
	global_load_dwordx2 v[16:17], v[4:5], off sc0 sc1
	s_waitcnt vmcnt(0)
	global_atomic_cmpswap_x2 v[4:5], v3, v[16:19], s[12:13] offset:24 sc0 sc1
	s_waitcnt vmcnt(0)
	buffer_inv sc0 sc1
	v_cmp_eq_u64_e32 vcc, v[4:5], v[18:19]
	s_or_b64 s[16:17], vcc, s[16:17]
	s_andn2_b64 exec, exec, s[16:17]
	s_cbranch_execnz .LBB14_174
; %bb.175:                              ;   in Loop: Header=BB14_4 Depth=1
	s_or_b64 exec, exec, s[16:17]
.LBB14_176:                             ;   in Loop: Header=BB14_4 Depth=1
	s_or_b64 exec, exec, s[14:15]
.LBB14_177:                             ;   in Loop: Header=BB14_4 Depth=1
	s_or_b64 exec, exec, s[6:7]
	global_load_dwordx2 v[12:13], v3, s[12:13] offset:40
	global_load_dwordx4 v[16:19], v3, s[12:13]
	v_readfirstlane_b32 s15, v5
	v_readfirstlane_b32 s14, v4
	s_mov_b64 s[6:7], exec
	s_waitcnt vmcnt(1)
	v_readfirstlane_b32 s16, v12
	v_readfirstlane_b32 s17, v13
	s_and_b64 s[16:17], s[16:17], s[14:15]
	s_mul_i32 s5, s17, 24
	s_mul_hi_u32 s18, s16, 24
	s_add_i32 s19, s18, s5
	s_mul_i32 s18, s16, 24
	s_waitcnt vmcnt(0)
	v_lshl_add_u64 v[12:13], v[16:17], 0, s[18:19]
	s_and_saveexec_b64 s[18:19], s[0:1]
	s_cbranch_execz .LBB14_179
; %bb.178:                              ;   in Loop: Header=BB14_4 Depth=1
	v_mov_b64_e32 v[4:5], s[6:7]
	global_store_dwordx4 v[12:13], v[4:7], off offset:8
.LBB14_179:                             ;   in Loop: Header=BB14_4 Depth=1
	s_or_b64 exec, exec, s[18:19]
	s_lshl_b64 s[6:7], s[16:17], 12
	v_lshl_add_u64 v[4:5], v[18:19], 0, s[6:7]
	s_mov_b32 s6, s4
	s_mov_b32 s7, s4
	s_mov_b32 s5, s4
	v_mov_b64_e32 v[20:21], s[6:7]
	v_and_b32_e32 v2, 0xffff, v15
	v_and_or_b32 v0, v0, s28, 32
	v_readfirstlane_b32 s16, v4
	v_readfirstlane_b32 s17, v5
	v_mov_b64_e32 v[18:19], s[4:5]
	s_nop 3
	global_store_dwordx4 v36, v[0:3], s[16:17]
	global_store_dwordx4 v36, v[18:21], s[16:17] offset:16
	global_store_dwordx4 v36, v[18:21], s[16:17] offset:32
	;; [unrolled: 1-line block ×3, first 2 shown]
	s_and_saveexec_b64 s[6:7], s[0:1]
	s_cbranch_execz .LBB14_187
; %bb.180:                              ;   in Loop: Header=BB14_4 Depth=1
	global_load_dwordx2 v[20:21], v3, s[12:13] offset:32 sc0 sc1
	global_load_dwordx2 v[0:1], v3, s[12:13] offset:40
	v_mov_b32_e32 v18, s14
	v_mov_b32_e32 v19, s15
	s_waitcnt vmcnt(0)
	v_readfirstlane_b32 s16, v0
	v_readfirstlane_b32 s17, v1
	s_and_b64 s[16:17], s[16:17], s[14:15]
	s_mul_i32 s5, s17, 24
	s_mul_hi_u32 s17, s16, 24
	s_mul_i32 s16, s16, 24
	s_add_i32 s17, s17, s5
	v_lshl_add_u64 v[0:1], v[16:17], 0, s[16:17]
	global_store_dwordx2 v[0:1], v[20:21], off
	buffer_wbl2 sc0 sc1
	s_waitcnt vmcnt(0)
	global_atomic_cmpswap_x2 v[18:19], v3, v[18:21], s[12:13] offset:32 sc0 sc1
	s_waitcnt vmcnt(0)
	v_cmp_ne_u64_e32 vcc, v[18:19], v[20:21]
	s_and_saveexec_b64 s[16:17], vcc
	s_cbranch_execz .LBB14_183
; %bb.181:                              ;   in Loop: Header=BB14_4 Depth=1
	s_mov_b64 s[18:19], 0
.LBB14_182:                             ;   Parent Loop BB14_4 Depth=1
                                        ; =>  This Inner Loop Header: Depth=2
	s_sleep 1
	global_store_dwordx2 v[0:1], v[18:19], off
	v_mov_b32_e32 v16, s14
	v_mov_b32_e32 v17, s15
	buffer_wbl2 sc0 sc1
	s_waitcnt vmcnt(0)
	global_atomic_cmpswap_x2 v[16:17], v3, v[16:19], s[12:13] offset:32 sc0 sc1
	s_waitcnt vmcnt(0)
	v_cmp_eq_u64_e32 vcc, v[16:17], v[18:19]
	s_or_b64 s[18:19], vcc, s[18:19]
	v_mov_b64_e32 v[18:19], v[16:17]
	s_andn2_b64 exec, exec, s[18:19]
	s_cbranch_execnz .LBB14_182
.LBB14_183:                             ;   in Loop: Header=BB14_4 Depth=1
	s_or_b64 exec, exec, s[16:17]
	global_load_dwordx2 v[0:1], v3, s[12:13] offset:16
	s_mov_b64 s[18:19], exec
	v_mbcnt_lo_u32_b32 v2, s18, 0
	v_mbcnt_hi_u32_b32 v2, s19, v2
	v_cmp_eq_u32_e32 vcc, 0, v2
	s_and_saveexec_b64 s[16:17], vcc
	s_cbranch_execz .LBB14_185
; %bb.184:                              ;   in Loop: Header=BB14_4 Depth=1
	s_bcnt1_i32_b64 s5, s[18:19]
	v_mov_b32_e32 v2, s5
	buffer_wbl2 sc0 sc1
	s_waitcnt vmcnt(0)
	global_atomic_add_x2 v[0:1], v[2:3], off offset:8 sc1
.LBB14_185:                             ;   in Loop: Header=BB14_4 Depth=1
	s_or_b64 exec, exec, s[16:17]
	s_waitcnt vmcnt(0)
	global_load_dwordx2 v[16:17], v[0:1], off offset:16
	s_waitcnt vmcnt(0)
	v_cmp_eq_u64_e32 vcc, 0, v[16:17]
	s_cbranch_vccnz .LBB14_187
; %bb.186:                              ;   in Loop: Header=BB14_4 Depth=1
	global_load_dword v2, v[0:1], off offset:24
	s_waitcnt vmcnt(0)
	v_readfirstlane_b32 s5, v2
	s_and_b32 m0, s5, 0xffffff
	buffer_wbl2 sc0 sc1
	global_store_dwordx2 v[16:17], v[2:3], off sc0 sc1
	s_sendmsg sendmsg(MSG_INTERRUPT)
.LBB14_187:                             ;   in Loop: Header=BB14_4 Depth=1
	s_or_b64 exec, exec, s[6:7]
	v_mov_b32_e32 v37, v3
	v_lshl_add_u64 v[0:1], v[4:5], 0, v[36:37]
	s_branch .LBB14_191
.LBB14_188:                             ;   in Loop: Header=BB14_191 Depth=2
	s_or_b64 exec, exec, s[6:7]
	v_readfirstlane_b32 s5, v2
	s_cmp_eq_u32 s5, 0
	s_cbranch_scc1 .LBB14_190
; %bb.189:                              ;   in Loop: Header=BB14_191 Depth=2
	s_sleep 1
	s_cbranch_execnz .LBB14_191
	s_branch .LBB14_193
.LBB14_190:                             ;   in Loop: Header=BB14_4 Depth=1
	s_branch .LBB14_193
.LBB14_191:                             ;   Parent Loop BB14_4 Depth=1
                                        ; =>  This Inner Loop Header: Depth=2
	v_mov_b32_e32 v2, 1
	s_and_saveexec_b64 s[6:7], s[0:1]
	s_cbranch_execz .LBB14_188
; %bb.192:                              ;   in Loop: Header=BB14_191 Depth=2
	global_load_dword v2, v[12:13], off offset:20 sc0 sc1
	s_waitcnt vmcnt(0)
	buffer_inv sc0 sc1
	v_and_b32_e32 v2, 1, v2
	s_branch .LBB14_188
.LBB14_193:                             ;   in Loop: Header=BB14_4 Depth=1
	global_load_dwordx2 v[12:13], v[0:1], off
	s_and_saveexec_b64 s[6:7], s[0:1]
	s_cbranch_execz .LBB14_197
; %bb.194:                              ;   in Loop: Header=BB14_4 Depth=1
	global_load_dwordx2 v[0:1], v3, s[12:13] offset:40
	global_load_dwordx2 v[20:21], v3, s[12:13] offset:24 sc0 sc1
	global_load_dwordx2 v[4:5], v3, s[12:13]
	s_waitcnt vmcnt(2)
	v_readfirstlane_b32 s16, v0
	v_readfirstlane_b32 s17, v1
	s_add_u32 s5, s16, 1
	s_addc_u32 s18, s17, 0
	s_add_u32 s0, s5, s14
	s_addc_u32 s1, s18, s15
	s_cmp_eq_u64 s[0:1], 0
	s_cselect_b32 s1, s18, s1
	s_cselect_b32 s0, s5, s0
	s_and_b64 s[14:15], s[0:1], s[16:17]
	s_mul_i32 s5, s15, 24
	s_mul_hi_u32 s15, s14, 24
	s_mul_i32 s14, s14, 24
	s_add_i32 s15, s15, s5
	s_waitcnt vmcnt(0)
	v_lshl_add_u64 v[0:1], v[4:5], 0, s[14:15]
	v_mov_b32_e32 v18, s0
	global_store_dwordx2 v[0:1], v[20:21], off
	v_mov_b32_e32 v19, s1
	buffer_wbl2 sc0 sc1
	s_waitcnt vmcnt(0)
	global_atomic_cmpswap_x2 v[18:19], v3, v[18:21], s[12:13] offset:24 sc0 sc1
	s_waitcnt vmcnt(0)
	v_cmp_ne_u64_e32 vcc, v[18:19], v[20:21]
	s_and_b64 exec, exec, vcc
	s_cbranch_execz .LBB14_197
; %bb.195:                              ;   in Loop: Header=BB14_4 Depth=1
	s_mov_b64 s[14:15], 0
.LBB14_196:                             ;   Parent Loop BB14_4 Depth=1
                                        ; =>  This Inner Loop Header: Depth=2
	s_sleep 1
	global_store_dwordx2 v[0:1], v[18:19], off
	v_mov_b32_e32 v16, s0
	v_mov_b32_e32 v17, s1
	buffer_wbl2 sc0 sc1
	s_waitcnt vmcnt(0)
	global_atomic_cmpswap_x2 v[4:5], v3, v[16:19], s[12:13] offset:24 sc0 sc1
	s_waitcnt vmcnt(0)
	v_cmp_eq_u64_e32 vcc, v[4:5], v[18:19]
	s_or_b64 s[14:15], vcc, s[14:15]
	v_mov_b64_e32 v[18:19], v[4:5]
	s_andn2_b64 exec, exec, s[14:15]
	s_cbranch_execnz .LBB14_196
.LBB14_197:                             ;   in Loop: Header=BB14_4 Depth=1
	s_or_b64 exec, exec, s[6:7]
	v_readfirstlane_b32 s0, v40
	v_mov_b64_e32 v[0:1], 0
	s_nop 0
	v_cmp_eq_u32_e64 s[0:1], s0, v40
	s_and_saveexec_b64 s[6:7], s[0:1]
	s_cbranch_execz .LBB14_203
; %bb.198:                              ;   in Loop: Header=BB14_4 Depth=1
	global_load_dwordx2 v[18:19], v3, s[12:13] offset:24 sc0 sc1
	s_waitcnt vmcnt(0)
	buffer_inv sc0 sc1
	global_load_dwordx2 v[0:1], v3, s[12:13] offset:40
	global_load_dwordx2 v[4:5], v3, s[12:13]
	s_waitcnt vmcnt(1)
	v_and_b32_e32 v0, v0, v18
	v_and_b32_e32 v1, v1, v19
	v_mul_lo_u32 v1, v1, 24
	v_mul_hi_u32 v2, v0, 24
	v_add_u32_e32 v1, v2, v1
	v_mul_lo_u32 v0, v0, 24
	s_waitcnt vmcnt(0)
	v_lshl_add_u64 v[0:1], v[4:5], 0, v[0:1]
	global_load_dwordx2 v[16:17], v[0:1], off sc0 sc1
	s_waitcnt vmcnt(0)
	global_atomic_cmpswap_x2 v[0:1], v3, v[16:19], s[12:13] offset:24 sc0 sc1
	s_waitcnt vmcnt(0)
	buffer_inv sc0 sc1
	v_cmp_ne_u64_e32 vcc, v[0:1], v[18:19]
	s_and_saveexec_b64 s[14:15], vcc
	s_cbranch_execz .LBB14_202
; %bb.199:                              ;   in Loop: Header=BB14_4 Depth=1
	s_mov_b64 s[16:17], 0
.LBB14_200:                             ;   Parent Loop BB14_4 Depth=1
                                        ; =>  This Inner Loop Header: Depth=2
	s_sleep 1
	global_load_dwordx2 v[4:5], v3, s[12:13] offset:40
	global_load_dwordx2 v[16:17], v3, s[12:13]
	v_mov_b64_e32 v[18:19], v[0:1]
	s_waitcnt vmcnt(1)
	v_and_b32_e32 v0, v4, v18
	s_waitcnt vmcnt(0)
	v_mad_u64_u32 v[0:1], s[18:19], v0, 24, v[16:17]
	v_and_b32_e32 v5, v5, v19
	v_mov_b32_e32 v2, v1
	v_mad_u64_u32 v[4:5], s[18:19], v5, 24, v[2:3]
	v_mov_b32_e32 v1, v4
	global_load_dwordx2 v[16:17], v[0:1], off sc0 sc1
	s_waitcnt vmcnt(0)
	global_atomic_cmpswap_x2 v[0:1], v3, v[16:19], s[12:13] offset:24 sc0 sc1
	s_waitcnt vmcnt(0)
	buffer_inv sc0 sc1
	v_cmp_eq_u64_e32 vcc, v[0:1], v[18:19]
	s_or_b64 s[16:17], vcc, s[16:17]
	s_andn2_b64 exec, exec, s[16:17]
	s_cbranch_execnz .LBB14_200
; %bb.201:                              ;   in Loop: Header=BB14_4 Depth=1
	s_or_b64 exec, exec, s[16:17]
.LBB14_202:                             ;   in Loop: Header=BB14_4 Depth=1
	s_or_b64 exec, exec, s[14:15]
.LBB14_203:                             ;   in Loop: Header=BB14_4 Depth=1
	s_or_b64 exec, exec, s[6:7]
	global_load_dwordx2 v[4:5], v3, s[12:13] offset:40
	global_load_dwordx4 v[16:19], v3, s[12:13]
	v_readfirstlane_b32 s15, v1
	v_readfirstlane_b32 s14, v0
	s_mov_b64 s[6:7], exec
	s_waitcnt vmcnt(1)
	v_readfirstlane_b32 s16, v4
	v_readfirstlane_b32 s17, v5
	s_and_b64 s[16:17], s[16:17], s[14:15]
	s_mul_i32 s5, s17, 24
	s_mul_hi_u32 s18, s16, 24
	s_add_i32 s19, s18, s5
	s_mul_i32 s18, s16, 24
	s_waitcnt vmcnt(0)
	v_lshl_add_u64 v[0:1], v[16:17], 0, s[18:19]
	s_and_saveexec_b64 s[18:19], s[0:1]
	s_cbranch_execz .LBB14_205
; %bb.204:                              ;   in Loop: Header=BB14_4 Depth=1
	v_mov_b64_e32 v[4:5], s[6:7]
	global_store_dwordx4 v[0:1], v[4:7], off offset:8
.LBB14_205:                             ;   in Loop: Header=BB14_4 Depth=1
	s_or_b64 exec, exec, s[18:19]
	s_lshl_b64 s[6:7], s[16:17], 12
	v_lshl_add_u64 v[4:5], v[18:19], 0, s[6:7]
	v_and_or_b32 v12, v12, s29, 34
	v_mov_b32_e32 v15, v3
	v_readfirstlane_b32 s16, v4
	v_readfirstlane_b32 s17, v5
	s_mov_b32 s6, s4
	s_mov_b32 s7, s4
	;; [unrolled: 1-line block ×3, first 2 shown]
	s_nop 1
	global_store_dwordx4 v36, v[12:15], s[16:17]
	s_nop 1
	v_mov_b64_e32 v[14:15], s[6:7]
	v_mov_b64_e32 v[12:13], s[4:5]
	global_store_dwordx4 v36, v[12:15], s[16:17] offset:16
	global_store_dwordx4 v36, v[12:15], s[16:17] offset:32
	;; [unrolled: 1-line block ×3, first 2 shown]
	s_and_saveexec_b64 s[6:7], s[0:1]
	s_cbranch_execz .LBB14_213
; %bb.206:                              ;   in Loop: Header=BB14_4 Depth=1
	global_load_dwordx2 v[20:21], v3, s[12:13] offset:32 sc0 sc1
	global_load_dwordx2 v[4:5], v3, s[12:13] offset:40
	v_mov_b32_e32 v18, s14
	v_mov_b32_e32 v19, s15
	s_waitcnt vmcnt(0)
	v_readfirstlane_b32 s16, v4
	v_readfirstlane_b32 s17, v5
	s_and_b64 s[16:17], s[16:17], s[14:15]
	s_mul_i32 s5, s17, 24
	s_mul_hi_u32 s17, s16, 24
	s_mul_i32 s16, s16, 24
	s_add_i32 s17, s17, s5
	v_lshl_add_u64 v[4:5], v[16:17], 0, s[16:17]
	global_store_dwordx2 v[4:5], v[20:21], off
	buffer_wbl2 sc0 sc1
	s_waitcnt vmcnt(0)
	global_atomic_cmpswap_x2 v[14:15], v3, v[18:21], s[12:13] offset:32 sc0 sc1
	s_waitcnt vmcnt(0)
	v_cmp_ne_u64_e32 vcc, v[14:15], v[20:21]
	s_and_saveexec_b64 s[16:17], vcc
	s_cbranch_execz .LBB14_209
; %bb.207:                              ;   in Loop: Header=BB14_4 Depth=1
	s_mov_b64 s[18:19], 0
.LBB14_208:                             ;   Parent Loop BB14_4 Depth=1
                                        ; =>  This Inner Loop Header: Depth=2
	s_sleep 1
	global_store_dwordx2 v[4:5], v[14:15], off
	v_mov_b32_e32 v12, s14
	v_mov_b32_e32 v13, s15
	buffer_wbl2 sc0 sc1
	s_waitcnt vmcnt(0)
	global_atomic_cmpswap_x2 v[12:13], v3, v[12:15], s[12:13] offset:32 sc0 sc1
	s_waitcnt vmcnt(0)
	v_cmp_eq_u64_e32 vcc, v[12:13], v[14:15]
	s_or_b64 s[18:19], vcc, s[18:19]
	v_mov_b64_e32 v[14:15], v[12:13]
	s_andn2_b64 exec, exec, s[18:19]
	s_cbranch_execnz .LBB14_208
.LBB14_209:                             ;   in Loop: Header=BB14_4 Depth=1
	s_or_b64 exec, exec, s[16:17]
	global_load_dwordx2 v[4:5], v3, s[12:13] offset:16
	s_mov_b64 s[18:19], exec
	v_mbcnt_lo_u32_b32 v2, s18, 0
	v_mbcnt_hi_u32_b32 v2, s19, v2
	v_cmp_eq_u32_e32 vcc, 0, v2
	s_and_saveexec_b64 s[16:17], vcc
	s_cbranch_execz .LBB14_211
; %bb.210:                              ;   in Loop: Header=BB14_4 Depth=1
	s_bcnt1_i32_b64 s5, s[18:19]
	v_mov_b32_e32 v2, s5
	buffer_wbl2 sc0 sc1
	s_waitcnt vmcnt(0)
	global_atomic_add_x2 v[4:5], v[2:3], off offset:8 sc1
.LBB14_211:                             ;   in Loop: Header=BB14_4 Depth=1
	s_or_b64 exec, exec, s[16:17]
	s_waitcnt vmcnt(0)
	global_load_dwordx2 v[12:13], v[4:5], off offset:16
	s_waitcnt vmcnt(0)
	v_cmp_eq_u64_e32 vcc, 0, v[12:13]
	s_cbranch_vccnz .LBB14_213
; %bb.212:                              ;   in Loop: Header=BB14_4 Depth=1
	global_load_dword v2, v[4:5], off offset:24
	s_waitcnt vmcnt(0)
	v_readfirstlane_b32 s5, v2
	s_and_b32 m0, s5, 0xffffff
	buffer_wbl2 sc0 sc1
	global_store_dwordx2 v[12:13], v[2:3], off sc0 sc1
	s_sendmsg sendmsg(MSG_INTERRUPT)
.LBB14_213:                             ;   in Loop: Header=BB14_4 Depth=1
	s_or_b64 exec, exec, s[6:7]
	s_branch .LBB14_217
.LBB14_214:                             ;   in Loop: Header=BB14_217 Depth=2
	s_or_b64 exec, exec, s[6:7]
	v_readfirstlane_b32 s5, v2
	s_cmp_eq_u32 s5, 0
	s_cbranch_scc1 .LBB14_216
; %bb.215:                              ;   in Loop: Header=BB14_217 Depth=2
	s_sleep 1
	s_cbranch_execnz .LBB14_217
	s_branch .LBB14_219
.LBB14_216:                             ;   in Loop: Header=BB14_4 Depth=1
	s_branch .LBB14_219
.LBB14_217:                             ;   Parent Loop BB14_4 Depth=1
                                        ; =>  This Inner Loop Header: Depth=2
	v_mov_b32_e32 v2, 1
	s_and_saveexec_b64 s[6:7], s[0:1]
	s_cbranch_execz .LBB14_214
; %bb.218:                              ;   in Loop: Header=BB14_217 Depth=2
	global_load_dword v2, v[0:1], off offset:20 sc0 sc1
	s_waitcnt vmcnt(0)
	buffer_inv sc0 sc1
	v_and_b32_e32 v2, 1, v2
	s_branch .LBB14_214
.LBB14_219:                             ;   in Loop: Header=BB14_4 Depth=1
	s_and_saveexec_b64 s[6:7], s[0:1]
	s_cbranch_execz .LBB14_2
; %bb.220:                              ;   in Loop: Header=BB14_4 Depth=1
	global_load_dwordx2 v[0:1], v3, s[12:13] offset:40
	global_load_dwordx2 v[16:17], v3, s[12:13] offset:24 sc0 sc1
	global_load_dwordx2 v[4:5], v3, s[12:13]
	s_waitcnt vmcnt(2)
	v_readfirstlane_b32 s16, v0
	v_readfirstlane_b32 s17, v1
	s_add_u32 s5, s16, 1
	s_addc_u32 s18, s17, 0
	s_add_u32 s0, s5, s14
	s_addc_u32 s1, s18, s15
	s_cmp_eq_u64 s[0:1], 0
	s_cselect_b32 s1, s18, s1
	s_cselect_b32 s0, s5, s0
	s_and_b64 s[14:15], s[0:1], s[16:17]
	s_mul_i32 s5, s15, 24
	s_mul_hi_u32 s15, s14, 24
	s_mul_i32 s14, s14, 24
	s_add_i32 s15, s15, s5
	s_waitcnt vmcnt(0)
	v_lshl_add_u64 v[0:1], v[4:5], 0, s[14:15]
	v_mov_b32_e32 v14, s0
	global_store_dwordx2 v[0:1], v[16:17], off
	v_mov_b32_e32 v15, s1
	buffer_wbl2 sc0 sc1
	s_waitcnt vmcnt(0)
	global_atomic_cmpswap_x2 v[14:15], v3, v[14:17], s[12:13] offset:24 sc0 sc1
	s_waitcnt vmcnt(0)
	v_cmp_ne_u64_e32 vcc, v[14:15], v[16:17]
	s_and_b64 exec, exec, vcc
	s_cbranch_execz .LBB14_2
; %bb.221:                              ;   in Loop: Header=BB14_4 Depth=1
	s_mov_b64 s[14:15], 0
.LBB14_222:                             ;   Parent Loop BB14_4 Depth=1
                                        ; =>  This Inner Loop Header: Depth=2
	s_sleep 1
	global_store_dwordx2 v[0:1], v[14:15], off
	v_mov_b32_e32 v12, s0
	v_mov_b32_e32 v13, s1
	buffer_wbl2 sc0 sc1
	s_waitcnt vmcnt(0)
	global_atomic_cmpswap_x2 v[4:5], v3, v[12:15], s[12:13] offset:24 sc0 sc1
	s_waitcnt vmcnt(0)
	v_cmp_eq_u64_e32 vcc, v[4:5], v[14:15]
	s_or_b64 s[14:15], vcc, s[14:15]
	v_mov_b64_e32 v[14:15], v[4:5]
	s_andn2_b64 exec, exec, s[14:15]
	s_cbranch_execnz .LBB14_222
	s_branch .LBB14_2
.LBB14_223:
	s_endpgm
	.section	.rodata,"a",@progbits
	.p2align	6, 0x0
	.amdhsa_kernel _Z5printiPN2rw3CutEPi
		.amdhsa_group_segment_fixed_size 0
		.amdhsa_private_segment_fixed_size 0
		.amdhsa_kernarg_size 280
		.amdhsa_user_sgpr_count 2
		.amdhsa_user_sgpr_dispatch_ptr 0
		.amdhsa_user_sgpr_queue_ptr 0
		.amdhsa_user_sgpr_kernarg_segment_ptr 1
		.amdhsa_user_sgpr_dispatch_id 0
		.amdhsa_user_sgpr_kernarg_preload_length 0
		.amdhsa_user_sgpr_kernarg_preload_offset 0
		.amdhsa_user_sgpr_private_segment_size 0
		.amdhsa_uses_dynamic_stack 0
		.amdhsa_enable_private_segment 0
		.amdhsa_system_sgpr_workgroup_id_x 1
		.amdhsa_system_sgpr_workgroup_id_y 0
		.amdhsa_system_sgpr_workgroup_id_z 0
		.amdhsa_system_sgpr_workgroup_info 0
		.amdhsa_system_vgpr_workitem_id 0
		.amdhsa_next_free_vgpr 41
		.amdhsa_next_free_sgpr 30
		.amdhsa_accum_offset 44
		.amdhsa_reserve_vcc 1
		.amdhsa_float_round_mode_32 0
		.amdhsa_float_round_mode_16_64 0
		.amdhsa_float_denorm_mode_32 3
		.amdhsa_float_denorm_mode_16_64 3
		.amdhsa_dx10_clamp 1
		.amdhsa_ieee_mode 1
		.amdhsa_fp16_overflow 0
		.amdhsa_tg_split 0
		.amdhsa_exception_fp_ieee_invalid_op 0
		.amdhsa_exception_fp_denorm_src 0
		.amdhsa_exception_fp_ieee_div_zero 0
		.amdhsa_exception_fp_ieee_overflow 0
		.amdhsa_exception_fp_ieee_underflow 0
		.amdhsa_exception_fp_ieee_inexact 0
		.amdhsa_exception_int_div_zero 0
	.end_amdhsa_kernel
	.text
.Lfunc_end14:
	.size	_Z5printiPN2rw3CutEPi, .Lfunc_end14-_Z5printiPN2rw3CutEPi
                                        ; -- End function
	.set _Z5printiPN2rw3CutEPi.num_vgpr, 41
	.set _Z5printiPN2rw3CutEPi.num_agpr, 0
	.set _Z5printiPN2rw3CutEPi.numbered_sgpr, 30
	.set _Z5printiPN2rw3CutEPi.num_named_barrier, 0
	.set _Z5printiPN2rw3CutEPi.private_seg_size, 0
	.set _Z5printiPN2rw3CutEPi.uses_vcc, 1
	.set _Z5printiPN2rw3CutEPi.uses_flat_scratch, 0
	.set _Z5printiPN2rw3CutEPi.has_dyn_sized_stack, 0
	.set _Z5printiPN2rw3CutEPi.has_recursion, 0
	.set _Z5printiPN2rw3CutEPi.has_indirect_call, 0
	.section	.AMDGPU.csdata,"",@progbits
; Kernel info:
; codeLenInByte = 8092
; TotalNumSgprs: 36
; NumVgprs: 41
; NumAgprs: 0
; TotalNumVgprs: 41
; ScratchSize: 0
; MemoryBound: 0
; FloatMode: 240
; IeeeMode: 1
; LDSByteSize: 0 bytes/workgroup (compile time only)
; SGPRBlocks: 4
; VGPRBlocks: 5
; NumSGPRsForWavesPerEU: 36
; NumVGPRsForWavesPerEU: 41
; AccumOffset: 44
; Occupancy: 8
; WaveLimiterHint : 1
; COMPUTE_PGM_RSRC2:SCRATCH_EN: 0
; COMPUTE_PGM_RSRC2:USER_SGPR: 2
; COMPUTE_PGM_RSRC2:TRAP_HANDLER: 0
; COMPUTE_PGM_RSRC2:TGID_X_EN: 1
; COMPUTE_PGM_RSRC2:TGID_Y_EN: 0
; COMPUTE_PGM_RSRC2:TGID_Z_EN: 0
; COMPUTE_PGM_RSRC2:TIDIG_COMP_CNT: 0
; COMPUTE_PGM_RSRC3_GFX90A:ACCUM_OFFSET: 10
; COMPUTE_PGM_RSRC3_GFX90A:TG_SPLIT: 0
	.text
	.protected	_Z16EvaluateNodeWaveiPiS_S_S_S_S_PN2rw3CutES2_S_PNS0_7LibraryEPNS0_9TableNodeEPKii ; -- Begin function _Z16EvaluateNodeWaveiPiS_S_S_S_S_PN2rw3CutES2_S_PNS0_7LibraryEPNS0_9TableNodeEPKii
	.globl	_Z16EvaluateNodeWaveiPiS_S_S_S_S_PN2rw3CutES2_S_PNS0_7LibraryEPNS0_9TableNodeEPKii
	.p2align	8
	.type	_Z16EvaluateNodeWaveiPiS_S_S_S_S_PN2rw3CutES2_S_PNS0_7LibraryEPNS0_9TableNodeEPKii,@function
_Z16EvaluateNodeWaveiPiS_S_S_S_S_PN2rw3CutES2_S_PNS0_7LibraryEPNS0_9TableNodeEPKii: ; @_Z16EvaluateNodeWaveiPiS_S_S_S_S_PN2rw3CutES2_S_PNS0_7LibraryEPNS0_9TableNodeEPKii
; %bb.0:
	s_mov_b64 s[44:45], s[0:1]
	s_load_dword s0, s[0:1], 0x7c
	s_nop 0
	s_load_dword s1, s[44:45], 0x0
	s_movk_i32 s32, 0x200
	s_waitcnt lgkmcnt(0)
	s_and_b32 s0, s0, 0xffff
	s_mul_i32 s2, s2, s0
	v_add_u32_e32 v46, s2, v0
	v_cmp_gt_u32_e32 vcc, s1, v46
	s_and_saveexec_b64 s[0:1], vcc
	s_cbranch_execz .LBB15_76
; %bb.1:
	s_load_dwordx8 s[48:55], s[44:45], 0x48
	v_ashrrev_i32_e32 v47, 31, v46
	s_load_dwordx16 s[0:15], s[44:45], 0x8
                                        ; implicit-def: $vgpr79 : SGPR spill to VGPR lane
	s_mov_b32 s69, 0
	s_waitcnt lgkmcnt(0)
	v_mov_b32_e32 v0, s54
	v_mov_b32_e32 v1, s55
	v_lshl_add_u64 v[0:1], v[46:47], 2, v[0:1]
	global_load_dword v0, v[0:1], off offset:4
	v_writelane_b32 v79, s0, 0
	s_waitcnt vmcnt(0)
	v_cmp_ne_u32_e32 vcc, 0, v0
	v_writelane_b32 v79, s1, 1
	v_writelane_b32 v79, s2, 2
	;; [unrolled: 1-line block ×15, first 2 shown]
	s_and_saveexec_b64 s[0:1], vcc
	s_xor_b64 s[28:29], exec, s[0:1]
	s_cbranch_execz .LBB15_74
; %bb.2:
	v_writelane_b32 v79, s28, 16
	s_mov_b64 s[0:1], src_private_base
	v_add_u32_e32 v40, 1, v46
	v_writelane_b32 v79, s29, 17
	v_writelane_b32 v79, s0, 18
	v_lshlrev_b32_e32 v43, 3, v40
	v_mov_b32_e32 v58, 0x5f5e0ff
	v_writelane_b32 v79, s1, 19
	s_add_u32 s0, s50, 0x80180
	s_addc_u32 s1, s51, 0
	v_writelane_b32 v79, s0, 20
	v_mov_b32_e32 v57, -1
	s_mov_b64 s[98:99], 0
	v_writelane_b32 v79, s1, 21
	s_add_u32 s0, s50, 0x80000
	s_addc_u32 s1, s51, 0
	v_writelane_b32 v79, s0, 22
	v_mov_b32_e32 v62, 0
	s_movk_i32 s65, 0xf0
	v_writelane_b32 v79, s1, 23
	s_add_u32 s0, s50, 0x40000
	s_addc_u32 s1, s51, 0
	v_writelane_b32 v79, s0, 24
	v_mov_b32_e32 v59, 2
	v_mov_b32_e32 v60, 0x120
	v_writelane_b32 v79, s1, 25
	s_add_u32 s0, s50, 0xc0180
	s_addc_u32 s1, s51, 0
	v_writelane_b32 v79, s0, 26
	v_mov_b32_e32 v61, 0
	v_mov_b32_e32 v56, -1
	v_writelane_b32 v79, s1, 27
	s_add_u32 s0, s50, 0xc4dd0
	s_addc_u32 s1, s51, 0
	v_writelane_b32 v79, s0, 28
	s_mov_b32 s64, 0
                                        ; implicit-def: $sgpr54_sgpr55
                                        ; implicit-def: $sgpr96_sgpr97
                                        ; implicit-def: $vgpr44
	s_nop 0
	v_writelane_b32 v79, s1, 29
	s_add_u32 s0, s50, 0xd1df0
	s_addc_u32 s1, s51, 0
	v_writelane_b32 v79, s0, 30
	s_nop 1
	v_writelane_b32 v79, s1, 31
	s_add_u32 s0, s50, 0xdee10
	s_addc_u32 s1, s51, 0
	v_writelane_b32 v79, s0, 32
	s_nop 1
	v_writelane_b32 v79, s1, 33
	s_add_u32 s0, s50, 0xebe30
	s_addc_u32 s1, s51, 0
	s_add_u32 s66, s50, 0xc04f8
	v_writelane_b32 v79, s0, 34
	s_addc_u32 s67, s51, 0
	s_nop 0
	v_writelane_b32 v79, s1, 35
	s_add_u32 s0, s50, 0xc0870
	s_addc_u32 s1, s51, 0
	v_writelane_b32 v79, s0, 36
	s_nop 1
	v_writelane_b32 v79, s1, 37
	s_mov_b32 s0, -1
	v_writelane_b32 v79, s0, 38
	s_nop 1
	v_writelane_b32 v79, s1, 39
	v_writelane_b32 v79, s2, 40
	;; [unrolled: 1-line block ×4, first 2 shown]
                                        ; implicit-def: $sgpr2_sgpr3
                                        ; implicit-def: $sgpr0_sgpr1
                                        ; kill: killed $sgpr0_sgpr1
	s_nop 1
	v_writelane_b32 v79, s45, 43
	s_branch .LBB15_4
.LBB15_3:                               ;   in Loop: Header=BB15_4 Depth=1
	s_or_b64 exec, exec, s[0:1]
	s_and_b64 s[0:1], exec, s[4:5]
	s_or_b64 s[98:99], s[0:1], s[98:99]
	v_readlane_b32 s0, v79, 52
	v_readlane_b32 s1, v79, 53
	s_andn2_b64 s[0:1], s[0:1], exec
	s_and_b64 s[2:3], s[8:9], exec
	s_or_b64 s[0:1], s[0:1], s[2:3]
	v_writelane_b32 v79, s0, 52
	s_and_b64 s[2:3], s[6:7], exec
	s_mov_b64 s[96:97], s[8:9]
	v_writelane_b32 v79, s1, 53
	s_mov_b64 s[54:55], s[6:7]
	v_readlane_b32 s0, v79, 44
	v_readlane_b32 s1, v79, 45
	s_andn2_b64 s[0:1], s[0:1], exec
	s_or_b64 s[2:3], s[0:1], s[2:3]
	s_andn2_b64 exec, exec, s[98:99]
	s_cbranch_execz .LBB15_69
.LBB15_4:                               ; =>This Loop Header: Depth=1
                                        ;     Child Loop BB15_13 Depth 2
                                        ;       Child Loop BB15_26 Depth 3
                                        ;       Child Loop BB15_39 Depth 3
                                        ;     Child Loop BB15_51 Depth 2
	v_writelane_b32 v79, s2, 44
	v_or_b32_e32 v0, s64, v43
	s_nop 0
	v_writelane_b32 v79, s3, 45
	s_load_dwordx16 s[0:15], s[44:45], 0x8
	s_waitcnt lgkmcnt(0)
	s_mov_b64 s[2:3], -1
                                        ; implicit-def: $sgpr6_sgpr7
	v_mad_i64_i32 v[76:77], s[0:1], v0, 28, s[12:13]
	global_load_ubyte v0, v[76:77], off offset:24
                                        ; implicit-def: $sgpr0_sgpr1
	s_waitcnt vmcnt(0)
	v_cmp_ne_u16_e32 vcc, 0, v0
	s_mov_b64 s[4:5], exec
	v_writelane_b32 v79, s4, 46
	s_nop 1
	v_writelane_b32 v79, s5, 47
	s_and_b64 s[4:5], s[4:5], vcc
	s_mov_b64 exec, s[4:5]
	s_cbranch_execz .LBB15_67
; %bb.5:                                ;   in Loop: Header=BB15_4 Depth=1
	global_load_dword v63, v[76:77], off offset:20
                                        ; implicit-def: $sgpr6_sgpr7
                                        ; implicit-def: $sgpr0_sgpr1
	s_waitcnt vmcnt(0)
	v_bfe_u32 v78, v63, 27, 4
	v_cmp_gt_u32_e64 s[4:5], 3, v78
	v_cmp_lt_u32_e32 vcc, 2, v78
	s_mov_b64 s[2:3], exec
	v_writelane_b32 v79, s2, 48
	s_nop 1
	v_writelane_b32 v79, s3, 49
	s_and_b64 s[2:3], s[2:3], vcc
	s_mov_b64 exec, s[2:3]
	s_cbranch_execz .LBB15_66
; %bb.6:                                ;   in Loop: Header=BB15_4 Depth=1
	v_writelane_b32 v79, s4, 50
	v_cmp_eq_u32_e32 vcc, 3, v78
	s_nop 0
	v_writelane_b32 v79, s5, 51
	s_and_saveexec_b64 s[0:1], vcc
	s_cbranch_execz .LBB15_8
; %bb.7:                                ;   in Loop: Header=BB15_4 Depth=1
	v_and_b32_e32 v0, 0x87ffffff, v63
	v_or_b32_e32 v63, 0x20000000, v0
	global_store_dwordx2 v[76:77], v[62:63], off offset:16
.LBB15_8:                               ;   in Loop: Header=BB15_4 Depth=1
	s_or_b64 exec, exec, s[0:1]
	s_load_dwordx16 s[4:19], s[44:45], 0x8
	v_readlane_b32 s2, v79, 18
	v_readlane_b32 s3, v79, 19
	s_getpc_b64 s[0:1]
	s_add_u32 s0, s0, _Z8CalcMFFCiPN2rw3CutEPiS2_S2_S2_S2_S2_i@rel32@lo+4
	s_addc_u32 s1, s1, _Z8CalcMFFCiPN2rw3CutEPiS2_S2_S2_S2_S2_i@rel32@hi+12
	v_mov_b32_e32 v0, v40
	v_mov_b32_e32 v1, v76
	;; [unrolled: 1-line block ×3, first 2 shown]
	s_waitcnt lgkmcnt(0)
	v_mov_b32_e32 v3, s6
	v_mov_b32_e32 v4, s7
	;; [unrolled: 1-line block ×12, first 2 shown]
	scratch_store_dword off, v62, off offset:216
	s_swappc_b64 s[30:31], s[0:1]
	v_readlane_b32 s0, v79, 24
	v_mov_b32_e32 v41, v0
	v_lshlrev_b32_sdwa v0, v59, v63 dst_sel:DWORD dst_unused:UNUSED_PAD src0_sel:DWORD src1_sel:WORD_0
	v_readlane_b32 s1, v79, 25
	v_readlane_b32 s44, v79, 42
	;; [unrolled: 1-line block ×3, first 2 shown]
	s_nop 2
	global_load_dword v2, v0, s[0:1]
	v_readlane_b32 s0, v79, 20
	v_readlane_b32 s1, v79, 21
	s_waitcnt vmcnt(0)
	v_ashrrev_i32_e32 v3, 31, v2
	s_nop 2
	global_load_dword v72, v0, s[0:1]
	v_readlane_b32 s0, v79, 22
	v_readlane_b32 s1, v79, 23
	s_waitcnt vmcnt(0)
	v_ashrrev_i32_e32 v73, 31, v72
	v_lshl_add_u64 v[2:3], v[2:3], 4, s[0:1]
	global_load_dwordx4 v[2:5], v[2:3], off
	v_readlane_b32 s0, v79, 26
	v_readlane_b32 s1, v79, 27
	s_nop 1
	v_lshl_add_u64 v[6:7], v[72:73], 2, s[0:1]
	global_load_dword v16, v[6:7], off
	v_readlane_b32 s0, v79, 0
	v_readlane_b32 s10, v79, 10
	;; [unrolled: 1-line block ×20, first 2 shown]
	s_mov_b32 s8, s0
	s_mov_b32 s9, s0
	s_mov_b64 s[6:7], -1
	s_mov_b64 s[4:5], -1
	s_waitcnt vmcnt(1)
	v_ashrrev_i32_e32 v7, 31, v2
	v_mov_b32_e32 v6, v2
	v_ashrrev_i32_e32 v11, 31, v5
	v_mov_b32_e32 v10, v5
	;; [unrolled: 2-line block ×4, first 2 shown]
	v_lshl_add_u64 v[4:5], v[6:7], 2, v[76:77]
	v_lshl_add_u64 v[10:11], v[10:11], 2, v[76:77]
	;; [unrolled: 1-line block ×4, first 2 shown]
	global_load_dword v2, v[4:5], off offset:4
	global_load_dword v12, v[6:7], off offset:4
	s_nop 0
	global_load_dword v4, v[8:9], off offset:4
	s_nop 0
	global_load_dword v10, v[10:11], off offset:4
	s_waitcnt vmcnt(4)
	v_cmp_lt_i32_e32 vcc, 0, v16
	s_waitcnt vmcnt(3)
	v_ashrrev_i32_e32 v3, 31, v2
	s_waitcnt vmcnt(2)
	v_ashrrev_i32_e32 v13, 31, v12
	s_waitcnt vmcnt(1)
	v_ashrrev_i32_e32 v5, 31, v4
	s_waitcnt vmcnt(0)
	v_ashrrev_i32_e32 v11, 31, v10
	v_lshl_add_u64 v[6:7], v[2:3], 2, s[10:11]
	v_lshl_add_u64 v[8:9], v[12:13], 2, s[10:11]
	;; [unrolled: 1-line block ×4, first 2 shown]
	global_load_dword v6, v[6:7], off
	s_nop 0
	global_load_dword v7, v[8:9], off
	s_nop 0
	global_load_dword v8, v[14:15], off
	global_load_dword v9, v[18:19], off
	s_mov_b32 s10, s0
	s_mov_b32 s11, s0
	v_writelane_b32 v79, s0, 38
	v_mov_b64_e32 v[20:21], s[10:11]
	v_mov_b64_e32 v[18:19], s[8:9]
	v_writelane_b32 v79, s1, 39
	v_writelane_b32 v79, s2, 40
	v_mov_b64_e32 v[14:15], s[8:9]
	v_mov_b32_e32 v3, v12
	v_mov_b32_e32 v5, v10
	scratch_store_dwordx4 off, v[18:21], off offset:288
	scratch_store_dwordx4 off, v[18:21], off
	scratch_store_dwordx4 off, v[18:21], off offset:304
	scratch_store_dwordx4 off, v[18:21], off offset:16
	;; [unrolled: 1-line block ×24, first 2 shown]
	v_writelane_b32 v79, s3, 41
	scratch_store_dwordx2 off, v[14:15], off offset:496
	scratch_store_dwordx2 off, v[14:15], off offset:208
	scratch_store_dwordx4 off, v[2:5], off
	s_waitcnt vmcnt(29)
	scratch_store_dwordx4 off, v[6:9], off offset:288
	s_and_saveexec_b64 s[8:9], vcc
	s_cbranch_execz .LBB15_47
; %bb.9:                                ;   in Loop: Header=BB15_4 Depth=1
	global_load_dword v2, v0, s[50:51]
	scratch_load_dword v17, off, off offset:216
	s_getpc_b64 s[0:1]
	s_add_u32 s0, s0, P@rel32@lo+4
	s_addc_u32 s1, s1, P@rel32@hi+12
	global_load_dwordx2 v[0:1], v62, s[0:1]
	v_readlane_b32 s0, v79, 28
	v_readlane_b32 s1, v79, 29
	v_mov_b32_e32 v3, v62
	s_mov_b32 s68, 0
	v_mov_b64_e32 v[4:5], s[0:1]
	v_readlane_b32 s0, v79, 30
	v_readlane_b32 s1, v79, 31
	s_mov_b64 s[10:11], 0
                                        ; implicit-def: $sgpr12_sgpr13
                                        ; implicit-def: $sgpr14_sgpr15
                                        ; implicit-def: $sgpr16_sgpr17
	s_waitcnt vmcnt(2)
	v_and_b32_e32 v2, 15, v2
	v_mov_b64_e32 v[6:7], s[0:1]
	v_readlane_b32 s0, v79, 32
	v_readlane_b32 s1, v79, 33
	s_nop 1
	v_mov_b64_e32 v[8:9], s[0:1]
	v_readlane_b32 s0, v79, 34
	v_readlane_b32 s1, v79, 35
	s_nop 1
	v_mov_b64_e32 v[10:11], s[0:1]
	v_mad_i64_i32 v[4:5], s[0:1], v72, s65, v[4:5]
	v_mad_i64_i32 v[6:7], s[0:1], v72, s65, v[6:7]
	;; [unrolled: 1-line block ×4, first 2 shown]
	s_waitcnt vmcnt(1)
	v_cmp_lt_i32_e64 s[0:1], 0, v17
	s_branch .LBB15_13
.LBB15_10:                              ;   in Loop: Header=BB15_13 Depth=2
	s_or_b64 exec, exec, s[22:23]
	s_add_i32 s68, s68, 1
	v_cmp_eq_u32_e32 vcc, s68, v16
	s_xor_b64 s[4:5], exec, -1
	s_orn2_b64 s[2:3], vcc, exec
.LBB15_11:                              ;   in Loop: Header=BB15_13 Depth=2
	s_or_b64 exec, exec, s[20:21]
	s_andn2_b64 s[16:17], s[16:17], exec
	s_and_b64 s[4:5], s[4:5], exec
	s_or_b64 s[16:17], s[16:17], s[4:5]
	s_andn2_b64 s[4:5], s[14:15], exec
	s_and_b64 s[2:3], s[2:3], exec
	s_or_b64 s[14:15], s[4:5], s[2:3]
.LBB15_12:                              ;   in Loop: Header=BB15_13 Depth=2
	s_or_b64 exec, exec, s[18:19]
	s_xor_b64 s[2:3], s[16:17], -1
	s_and_b64 s[4:5], exec, s[14:15]
	s_or_b64 s[10:11], s[4:5], s[10:11]
	s_andn2_b64 s[4:5], s[12:13], exec
	s_and_b64 s[2:3], s[2:3], exec
	s_or_b64 s[12:13], s[4:5], s[2:3]
	s_andn2_b64 exec, exec, s[10:11]
	s_cbranch_execz .LBB15_46
.LBB15_13:                              ;   Parent Loop BB15_4 Depth=1
                                        ; =>  This Loop Header: Depth=2
                                        ;       Child Loop BB15_26 Depth 3
                                        ;       Child Loop BB15_39 Depth 3
	v_lshl_add_u64 v[12:13], s[68:69], 2, v[4:5]
	global_load_dword v12, v[12:13], off
	s_or_b64 s[16:17], s[16:17], exec
	s_or_b64 s[14:15], s[14:15], exec
	s_waitcnt vmcnt(0)
	v_lshl_add_u32 v13, v12, 2, v60
	scratch_load_dword v14, v13, off
	s_waitcnt vmcnt(0)
	v_cmp_ne_u32_e32 vcc, -1, v14
	s_and_saveexec_b64 s[18:19], vcc
	s_cbranch_execz .LBB15_12
; %bb.14:                               ;   in Loop: Header=BB15_13 Depth=2
	v_lshl_add_u64 v[18:19], s[68:69], 2, v[6:7]
	global_load_dword v13, v[18:19], off
	s_mov_b64 s[2:3], -1
	s_mov_b64 s[4:5], -1
	s_waitcnt vmcnt(0)
	v_lshl_add_u32 v15, v13, 2, v60
	scratch_load_dword v15, v15, off
	s_waitcnt vmcnt(0)
	v_cmp_ne_u32_e32 vcc, -1, v15
	s_and_saveexec_b64 s[20:21], vcc
	s_cbranch_execz .LBB15_11
; %bb.15:                               ;   in Loop: Header=BB15_13 Depth=2
	v_lshl_add_u32 v18, v12, 2, v61
	scratch_load_dword v18, v18, off
	v_max_i32_e32 v14, v14, v15
	s_lshl_b32 s40, s68, 2
	v_add_u32_e32 v14, 1, v14
	s_add_i32 s33, s40, 0x120
	scratch_store_dword off, v14, s33 offset:16
	s_waitcnt vmcnt(1)
	v_cmp_ne_u32_e32 vcc, -1, v18
	s_and_saveexec_b64 s[22:23], vcc
	s_cbranch_execz .LBB15_10
; %bb.16:                               ;   in Loop: Header=BB15_13 Depth=2
	v_lshl_add_u32 v14, v13, 2, v61
	scratch_load_dword v14, v14, off
	v_cmp_ne_u32_e32 vcc, v18, v40
	s_waitcnt vmcnt(0)
	v_cmp_ne_u32_e64 s[2:3], -1, v14
	s_and_b64 s[2:3], vcc, s[2:3]
	v_cmp_ne_u32_e32 vcc, v14, v40
	s_and_b64 s[2:3], vcc, s[2:3]
	s_and_b64 exec, exec, s[2:3]
	s_cbranch_execz .LBB15_10
; %bb.17:                               ;   in Loop: Header=BB15_13 Depth=2
	s_lshl_b64 s[2:3], s[68:69], 2
	v_lshl_add_u64 v[20:21], v[8:9], 0, s[2:3]
	v_lshl_add_u64 v[22:23], v[10:11], 0, s[2:3]
	global_load_dword v15, v[20:21], off
	s_nop 0
	global_load_dword v22, v[22:23], off
	v_lshrrev_b64 v[20:21], v12, v[2:3]
	v_lshrrev_b64 v[12:13], v13, v[2:3]
	v_cmp_gt_i32_e32 vcc, v18, v14
	v_mov_b32_e32 v21, v14
	s_waitcnt vmcnt(1)
	v_bitop3_b32 v19, v15, v20, 1 bitop3:0x78
	s_waitcnt vmcnt(0)
	v_bitop3_b32 v12, v22, v12, 1 bitop3:0x78
	v_mov_b32_e32 v20, v12
	s_and_saveexec_b64 s[2:3], vcc
; %bb.18:                               ;   in Loop: Header=BB15_13 Depth=2
	v_mov_b32_e32 v20, v19
	v_mov_b32_e32 v19, v12
	;; [unrolled: 1-line block ×4, first 2 shown]
; %bb.19:                               ;   in Loop: Header=BB15_13 Depth=2
	s_or_b64 exec, exec, s[2:3]
	global_load_dword v14, v[0:1], off
	s_movk_i32 s2, 0x1f01
	v_mul_lo_u32 v12, v18, s2
	s_movk_i32 s2, 0xb9b
	v_mul_lo_u32 v13, v21, s2
	;; [unrolled: 2-line block ×4, first 2 shown]
	v_xor_b32_e32 v15, v15, v22
	v_xor_b32_e32 v13, v15, v13
	;; [unrolled: 1-line block ×3, first 2 shown]
	v_ashrrev_i32_e32 v13, 31, v12
	s_waitcnt vmcnt(0)
	v_readfirstlane_b32 s26, v14
	s_ashr_i32 s27, s26, 31
	v_or_b32_e32 v63, s27, v13
	v_cmp_ne_u64_e32 vcc, 0, v[62:63]
                                        ; implicit-def: $vgpr14_vgpr15
	s_and_saveexec_b64 s[2:3], vcc
	s_xor_b64 s[24:25], exec, s[2:3]
	s_cbranch_execz .LBB15_21
; %bb.20:                               ;   in Loop: Header=BB15_13 Depth=2
	v_cvt_f32_u32_e32 v14, s26
	v_cvt_f32_u32_e32 v15, s27
	s_sub_u32 s4, 0, s26
	s_subb_u32 s5, 0, s27
	v_mov_b32_e32 v23, v62
	v_fmac_f32_e32 v14, 0x4f800000, v15
	v_rcp_f32_e32 v14, v14
	s_nop 0
	v_mul_f32_e32 v14, 0x5f7ffffc, v14
	v_mul_f32_e32 v15, 0x2f800000, v14
	v_trunc_f32_e32 v15, v15
	v_fmac_f32_e32 v14, 0xcf800000, v15
	v_cvt_u32_f32_e32 v15, v15
	v_cvt_u32_f32_e32 v14, v14
	v_readfirstlane_b32 s28, v15
	v_readfirstlane_b32 s2, v14
	s_mul_i32 s3, s4, s28
	s_mul_hi_u32 s30, s4, s2
	s_mul_i32 s29, s5, s2
	s_add_i32 s3, s30, s3
	s_mul_i32 s31, s4, s2
	s_add_i32 s3, s3, s29
	s_mul_i32 s30, s2, s3
	s_mul_hi_u32 s34, s2, s31
	s_mul_hi_u32 s29, s2, s3
	s_add_u32 s30, s34, s30
	s_addc_u32 s29, 0, s29
	s_mul_hi_u32 s35, s28, s31
	s_mul_i32 s31, s28, s31
	s_add_u32 s30, s30, s31
	s_mul_hi_u32 s34, s28, s3
	s_addc_u32 s29, s29, s35
	s_addc_u32 s30, s34, 0
	s_mul_i32 s3, s28, s3
	s_add_u32 s3, s29, s3
	s_addc_u32 s29, 0, s30
	s_add_u32 s30, s2, s3
	s_cselect_b64 s[2:3], -1, 0
	s_cmp_lg_u64 s[2:3], 0
	s_addc_u32 s28, s28, s29
	s_mul_i32 s2, s4, s28
	s_mul_hi_u32 s3, s4, s30
	s_add_i32 s2, s3, s2
	s_mul_i32 s5, s5, s30
	s_add_i32 s2, s2, s5
	s_mul_i32 s4, s4, s30
	s_mul_hi_u32 s5, s28, s4
	s_mul_i32 s29, s28, s4
	s_mul_i32 s34, s30, s2
	s_mul_hi_u32 s4, s30, s4
	s_mul_hi_u32 s31, s30, s2
	s_add_u32 s4, s4, s34
	s_addc_u32 s31, 0, s31
	s_add_u32 s4, s4, s29
	s_mul_hi_u32 s3, s28, s2
	s_addc_u32 s4, s31, s5
	s_addc_u32 s3, s3, 0
	s_mul_i32 s2, s28, s2
	s_add_u32 s2, s4, s2
	s_addc_u32 s4, 0, s3
	s_add_u32 s5, s30, s2
	s_cselect_b64 s[2:3], -1, 0
	s_cmp_lg_u64 s[2:3], 0
	s_addc_u32 s4, s28, s4
	v_mad_u64_u32 v[14:15], s[2:3], v12, s4, 0
	v_mul_hi_u32 v22, v12, s5
	v_lshl_add_u64 v[14:15], v[22:23], 0, v[14:15]
	v_mad_u64_u32 v[24:25], s[2:3], v13, s5, 0
	v_add_co_u32_e32 v14, vcc, v14, v24
	v_mad_u64_u32 v[22:23], s[2:3], v13, s4, 0
	s_nop 0
	v_addc_co_u32_e32 v14, vcc, v15, v25, vcc
	v_mov_b32_e32 v15, v62
	s_nop 0
	v_addc_co_u32_e32 v23, vcc, 0, v23, vcc
	v_lshl_add_u64 v[14:15], v[14:15], 0, v[22:23]
	v_mul_lo_u32 v22, s27, v14
	v_mul_lo_u32 v23, s26, v15
	v_mad_u64_u32 v[14:15], s[2:3], s26, v14, 0
	v_add3_u32 v15, v15, v23, v22
	v_sub_u32_e32 v22, v13, v15
	v_mov_b32_e32 v23, s27
	v_sub_co_u32_e32 v12, vcc, v12, v14
	s_nop 1
	v_subb_co_u32_e64 v14, s[2:3], v22, v23, vcc
	v_subrev_co_u32_e64 v22, s[2:3], s26, v12
	v_subb_co_u32_e32 v13, vcc, v13, v15, vcc
	s_nop 0
	v_subbrev_co_u32_e64 v24, s[4:5], 0, v14, s[2:3]
	v_cmp_le_u32_e64 s[4:5], s27, v24
	v_subb_co_u32_e64 v14, s[2:3], v14, v23, s[2:3]
	s_nop 0
	v_cndmask_b32_e64 v25, 0, -1, s[4:5]
	v_cmp_le_u32_e64 s[4:5], s26, v22
	v_subrev_co_u32_e64 v23, s[2:3], s26, v22
	s_nop 0
	v_cndmask_b32_e64 v26, 0, -1, s[4:5]
	v_cmp_eq_u32_e64 s[4:5], s27, v24
	v_subbrev_co_u32_e64 v14, s[2:3], 0, v14, s[2:3]
	s_nop 0
	v_cndmask_b32_e64 v25, v25, v26, s[4:5]
	v_cmp_le_u32_e32 vcc, s27, v13
	v_cmp_ne_u32_e64 s[2:3], 0, v25
	s_nop 0
	v_cndmask_b32_e64 v15, 0, -1, vcc
	v_cmp_le_u32_e32 vcc, s26, v12
	v_cndmask_b32_e64 v14, v24, v14, s[2:3]
	s_nop 0
	v_cndmask_b32_e64 v24, 0, -1, vcc
	v_cmp_eq_u32_e32 vcc, s27, v13
	s_nop 1
	v_cndmask_b32_e32 v15, v15, v24, vcc
	v_cmp_ne_u32_e32 vcc, 0, v15
	s_nop 1
	v_cndmask_b32_e32 v15, v13, v14, vcc
	v_cndmask_b32_e64 v13, v22, v23, s[2:3]
	v_cndmask_b32_e32 v14, v12, v13, vcc
                                        ; implicit-def: $vgpr12_vgpr13
.LBB15_21:                              ;   in Loop: Header=BB15_13 Depth=2
	s_andn2_saveexec_b64 s[2:3], s[24:25]
	s_cbranch_execz .LBB15_23
; %bb.22:                               ;   in Loop: Header=BB15_13 Depth=2
	v_cvt_f32_u32_e32 v13, s26
	s_sub_i32 s4, 0, s26
	v_mov_b32_e32 v15, v62
	v_rcp_iflag_f32_e32 v13, v13
	s_nop 0
	v_mul_f32_e32 v13, 0x4f7ffffe, v13
	v_cvt_u32_f32_e32 v13, v13
	v_mul_lo_u32 v14, s4, v13
	v_mul_hi_u32 v14, v13, v14
	v_add_u32_e32 v13, v13, v14
	v_mul_hi_u32 v13, v12, v13
	v_mul_lo_u32 v13, v13, s26
	v_sub_u32_e32 v12, v12, v13
	v_subrev_u32_e32 v13, s26, v12
	v_cmp_le_u32_e32 vcc, s26, v12
	s_nop 1
	v_cndmask_b32_e32 v12, v12, v13, vcc
	v_subrev_u32_e32 v13, s26, v12
	v_cmp_le_u32_e32 vcc, s26, v12
	s_nop 1
	v_cndmask_b32_e32 v14, v12, v13, vcc
.LBB15_23:                              ;   in Loop: Header=BB15_13 Depth=2
	s_or_b64 exec, exec, s[2:3]
	s_mov_b64 s[2:3], 0
                                        ; implicit-def: $sgpr4_sgpr5
                                        ; implicit-def: $vgpr22
	s_branch .LBB15_26
.LBB15_24:                              ;   in Loop: Header=BB15_26 Depth=3
	s_or_b64 exec, exec, s[30:31]
	s_xor_b64 s[26:27], s[28:29], -1
	s_andn2_b64 s[4:5], s[4:5], exec
	s_and_b64 s[26:27], s[26:27], exec
	s_or_b64 s[4:5], s[4:5], s[26:27]
.LBB15_25:                              ;   in Loop: Header=BB15_26 Depth=3
	s_or_b64 exec, exec, s[24:25]
	s_and_b64 s[24:25], exec, s[4:5]
	s_or_b64 s[2:3], s[24:25], s[2:3]
	v_mov_b32_e32 v22, v12
	s_andn2_b64 exec, exec, s[2:3]
	s_cbranch_execz .LBB15_35
.LBB15_26:                              ;   Parent Loop BB15_4 Depth=1
                                        ;     Parent Loop BB15_13 Depth=2
                                        ; =>    This Inner Loop Header: Depth=3
	v_lshl_add_u64 v[12:13], v[14:15], 3, s[52:53]
	global_load_dword v14, v[12:13], off offset:4
	v_mov_b32_e32 v12, -1
	s_or_b64 s[4:5], s[4:5], exec
	s_waitcnt vmcnt(0)
	v_cmp_ne_u32_e32 vcc, -1, v14
	s_and_saveexec_b64 s[24:25], vcc
	s_cbranch_execz .LBB15_25
; %bb.27:                               ;   in Loop: Header=BB15_26 Depth=3
	v_ashrrev_i32_e32 v15, 31, v14
	v_lshl_add_u64 v[12:13], v[14:15], 3, s[52:53]
	global_load_dword v12, v[12:13], off
	s_load_dwordx16 s[72:87], s[44:45], 0x8
	s_waitcnt vmcnt(0)
	v_ashrrev_i32_e32 v13, 31, v12
	s_waitcnt lgkmcnt(0)
	v_lshl_add_u64 v[24:25], v[12:13], 2, s[74:75]
	global_load_dword v23, v[24:25], off
	s_waitcnt vmcnt(0)
	v_cmp_ne_u32_e64 s[26:27], v23, v18
	v_cmp_eq_u32_e32 vcc, v23, v18
	s_and_saveexec_b64 s[28:29], vcc
	s_cbranch_execz .LBB15_33
; %bb.28:                               ;   in Loop: Header=BB15_26 Depth=3
	s_load_dwordx16 s[72:87], s[44:45], 0x8
	s_waitcnt lgkmcnt(0)
	v_lshl_add_u64 v[24:25], v[12:13], 2, s[76:77]
	global_load_dword v23, v[24:25], off
	s_waitcnt vmcnt(0)
	v_cmp_ne_u32_e64 s[30:31], v23, v21
	v_cmp_eq_u32_e32 vcc, v23, v21
	s_and_saveexec_b64 s[34:35], vcc
	s_cbranch_execz .LBB15_32
; %bb.29:                               ;   in Loop: Header=BB15_26 Depth=3
	s_load_dwordx16 s[72:87], s[44:45], 0x8
	;; [unrolled: 10-line block ×3, first 2 shown]
	s_andn2_b64 s[36:37], s[36:37], exec
	s_waitcnt lgkmcnt(0)
	v_lshl_add_u64 v[24:25], v[12:13], 2, s[80:81]
	global_load_dword v13, v[24:25], off
	s_waitcnt vmcnt(0)
	v_cmp_ne_u32_e32 vcc, v13, v20
	s_and_b64 s[42:43], vcc, exec
	s_or_b64 s[36:37], s[36:37], s[42:43]
.LBB15_31:                              ;   in Loop: Header=BB15_26 Depth=3
	s_or_b64 exec, exec, s[38:39]
	s_andn2_b64 s[30:31], s[30:31], exec
	s_and_b64 s[36:37], s[36:37], exec
	s_or_b64 s[30:31], s[30:31], s[36:37]
.LBB15_32:                              ;   in Loop: Header=BB15_26 Depth=3
	s_or_b64 exec, exec, s[34:35]
	s_andn2_b64 s[26:27], s[26:27], exec
	s_and_b64 s[30:31], s[30:31], exec
	s_or_b64 s[26:27], s[26:27], s[30:31]
.LBB15_33:                              ;   in Loop: Header=BB15_26 Depth=3
	s_or_b64 exec, exec, s[28:29]
	s_mov_b64 s[28:29], 0
	s_and_saveexec_b64 s[30:31], s[26:27]
	s_cbranch_execz .LBB15_24
; %bb.34:                               ;   in Loop: Header=BB15_26 Depth=3
	s_mov_b64 s[28:29], exec
	v_mov_b32_e32 v12, v22
	s_branch .LBB15_24
.LBB15_35:                              ;   in Loop: Header=BB15_13 Depth=2
	s_or_b64 exec, exec, s[2:3]
	v_cmp_ne_u32_e32 vcc, -1, v12
	s_and_b64 exec, exec, vcc
	s_cbranch_execz .LBB15_10
; %bb.36:                               ;   in Loop: Header=BB15_13 Depth=2
	s_mov_b64 s[4:5], -1
	s_and_saveexec_b64 s[2:3], s[0:1]
	s_cbranch_execz .LBB15_44
; %bb.37:                               ;   in Loop: Header=BB15_13 Depth=2
	s_movk_i32 s34, 0xe0
	s_mov_b32 s35, 0
	s_mov_b64 s[24:25], 0
                                        ; implicit-def: $sgpr4_sgpr5
                                        ; implicit-def: $sgpr28_sgpr29
                                        ; implicit-def: $sgpr26_sgpr27
	s_branch .LBB15_39
.LBB15_38:                              ;   in Loop: Header=BB15_39 Depth=3
	s_or_b64 exec, exec, s[30:31]
	s_and_b64 s[30:31], exec, s[28:29]
	s_or_b64 s[24:25], s[30:31], s[24:25]
	s_andn2_b64 s[4:5], s[4:5], exec
	s_and_b64 s[30:31], s[26:27], exec
	v_mov_b32_e32 v13, s35
	s_or_b64 s[4:5], s[4:5], s[30:31]
	s_mov_b32 s35, s36
	s_andn2_b64 exec, exec, s[24:25]
	s_cbranch_execz .LBB15_41
.LBB15_39:                              ;   Parent Loop BB15_4 Depth=1
                                        ;     Parent Loop BB15_13 Depth=2
                                        ; =>    This Inner Loop Header: Depth=3
	scratch_load_dword v13, off, s34
	s_or_b64 s[26:27], s[26:27], exec
	s_or_b64 s[28:29], s[28:29], exec
                                        ; implicit-def: $sgpr36
	s_waitcnt vmcnt(0)
	v_cmp_ne_u32_e32 vcc, v13, v12
	s_and_saveexec_b64 s[30:31], vcc
	s_cbranch_execz .LBB15_38
; %bb.40:                               ;   in Loop: Header=BB15_39 Depth=3
	s_add_i32 s36, s35, 1
	v_cmp_eq_u32_e32 vcc, s36, v17
	s_andn2_b64 s[28:29], s[28:29], exec
	s_and_b64 s[38:39], vcc, exec
	s_add_i32 s34, s34, 4
	s_andn2_b64 s[26:27], s[26:27], exec
	s_or_b64 s[28:29], s[28:29], s[38:39]
	s_branch .LBB15_38
.LBB15_41:                              ;   in Loop: Header=BB15_13 Depth=2
	s_or_b64 exec, exec, s[24:25]
	s_mov_b64 s[24:25], -1
	s_and_saveexec_b64 s[26:27], s[4:5]
	s_xor_b64 s[4:5], exec, s[26:27]
	s_cbranch_execz .LBB15_43
; %bb.42:                               ;   in Loop: Header=BB15_13 Depth=2
	v_lshlrev_b32_e32 v13, 2, v13
	scratch_load_dword v13, v13, off offset:256
	s_waitcnt vmcnt(0)
	v_cmp_ne_u32_e32 vcc, 0, v13
	s_orn2_b64 s[24:25], vcc, exec
.LBB15_43:                              ;   in Loop: Header=BB15_13 Depth=2
	s_or_b64 exec, exec, s[4:5]
	s_orn2_b64 s[4:5], s[24:25], exec
.LBB15_44:                              ;   in Loop: Header=BB15_13 Depth=2
	s_or_b64 exec, exec, s[2:3]
	s_and_b64 exec, exec, s[4:5]
	s_cbranch_execz .LBB15_10
; %bb.45:                               ;   in Loop: Header=BB15_13 Depth=2
	s_load_dwordx16 s[72:87], s[44:45], 0x8
	v_ashrrev_i32_e32 v13, 31, v12
	s_waitcnt lgkmcnt(0)
	v_lshl_add_u64 v[14:15], v[12:13], 2, s[82:83]
	global_load_dword v13, v[14:15], off
	s_nop 0
	scratch_store_dword off, v12, s40 offset:16
	s_waitcnt vmcnt(1)
	scratch_store_dword off, v13, s33 offset:16
	s_branch .LBB15_10
.LBB15_46:                              ;   in Loop: Header=BB15_4 Depth=1
	s_or_b64 exec, exec, s[10:11]
	s_orn2_b64 s[4:5], s[12:13], exec
.LBB15_47:                              ;   in Loop: Header=BB15_4 Depth=1
	s_or_b64 exec, exec, s[8:9]
	v_readlane_b32 s10, v79, 50
	v_readlane_b32 s11, v79, 51
	s_mov_b64 s[0:1], 0
	s_mov_b64 s[2:3], s[10:11]
	s_and_saveexec_b64 s[8:9], s[4:5]
	s_xor_b64 s[82:83], exec, s[8:9]
	s_cbranch_execz .LBB15_65
; %bb.48:                               ;   in Loop: Header=BB15_4 Depth=1
	v_lshl_add_u64 v[0:1], v[72:73], 2, s[66:67]
	global_load_dword v63, v[0:1], off
	s_mov_b64 s[0:1], -1
	s_waitcnt vmcnt(0)
	v_cmp_lt_i32_e32 vcc, 0, v63
	s_and_saveexec_b64 s[84:85], vcc
	s_cbranch_execz .LBB15_62
; %bb.49:                               ;   in Loop: Header=BB15_4 Depth=1
	v_readlane_b32 s0, v79, 36
	v_readlane_b32 s1, v79, 37
	s_mov_b64 s[80:81], s[66:67]
	s_mov_b32 s65, 0
	v_mov_b64_e32 v[0:1], s[0:1]
	s_movk_i32 s0, 0x50
	v_mad_i64_i32 v[74:75], s[0:1], v72, s0, v[0:1]
	s_mov_b32 s68, -2
	s_mov_b64 s[38:39], 0
                                        ; implicit-def: $sgpr70_sgpr71
	s_branch .LBB15_51
.LBB15_50:                              ;   in Loop: Header=BB15_51 Depth=2
	s_or_b64 exec, exec, s[4:5]
	s_xor_b64 s[0:1], s[2:3], -1
	s_and_b64 s[2:3], exec, s[86:87]
	s_or_b64 s[38:39], s[2:3], s[38:39]
	s_andn2_b64 s[2:3], s[70:71], exec
	s_and_b64 s[0:1], s[0:1], exec
	s_or_b64 s[70:71], s[2:3], s[0:1]
	s_andn2_b64 exec, exec, s[38:39]
	s_cbranch_execz .LBB15_61
.LBB15_51:                              ;   Parent Loop BB15_4 Depth=1
                                        ; =>  This Inner Loop Header: Depth=2
	global_load_dword v42, v[74:75], off
	s_mov_b64 s[86:87], -1
	s_mov_b64 s[0:1], -1
	s_waitcnt vmcnt(0)
	v_lshl_add_u32 v0, v42, 2, v61
	scratch_load_dword v0, v0, off
	s_waitcnt vmcnt(0)
	v_cmp_ne_u32_e32 vcc, v0, v40
	s_and_saveexec_b64 s[66:67], vcc
	s_cbranch_execz .LBB15_59
; %bb.52:                               ;   in Loop: Header=BB15_51 Depth=2
	v_readlane_b32 s2, v79, 18
	v_readlane_b32 s3, v79, 19
	s_getpc_b64 s[0:1]
	s_add_u32 s0, s0, _Z4EvaliPiiPN2rw7LibraryEi@rel32@lo+4
	s_addc_u32 s1, s1, _Z4EvaliPiiPN2rw7LibraryEi@rel32@hi+12
	v_mov_b32_e32 v0, v42
	v_mov_b32_e32 v1, 0
	;; [unrolled: 1-line block ×7, first 2 shown]
	s_swappc_b64 s[30:31], s[0:1]
	v_lshl_add_u32 v1, v42, 2, v60
	scratch_load_dword v1, v1, off
	v_readlane_b32 s44, v79, 42
	v_readlane_b32 s45, v79, 43
	s_mov_b64 s[0:1], 0
	s_waitcnt vmcnt(0)
	v_cmp_ne_u32_e32 vcc, -1, v1
	s_and_saveexec_b64 s[2:3], vcc
	s_cbranch_execz .LBB15_58
; %bb.53:                               ;   in Loop: Header=BB15_51 Depth=2
	s_load_dword s0, s[44:45], 0x68
	v_sub_u32_e32 v0, v41, v0
	v_max_i32_e32 v2, 0, v57
	s_waitcnt lgkmcnt(0)
	v_or_b32_e32 v3, s0, v0
	v_cmp_ne_u32_e32 vcc, 0, v3
	v_cmp_le_i32_e64 s[0:1], v2, v0
	s_and_b64 s[0:1], s[0:1], vcc
	s_and_saveexec_b64 s[4:5], s[0:1]
	s_cbranch_execz .LBB15_57
; %bb.54:                               ;   in Loop: Header=BB15_51 Depth=2
	v_cmp_ne_u32_e32 vcc, v0, v57
	v_cmp_lt_i32_e64 s[0:1], v1, v58
	s_or_b64 s[6:7], vcc, s[0:1]
	s_and_saveexec_b64 s[0:1], s[6:7]
; %bb.55:                               ;   in Loop: Header=BB15_51 Depth=2
	v_mov_b32_e32 v56, s64
	v_mov_b32_e32 v44, s65
	;; [unrolled: 1-line block ×4, first 2 shown]
; %bb.56:                               ;   in Loop: Header=BB15_51 Depth=2
	s_or_b64 exec, exec, s[0:1]
.LBB15_57:                              ;   in Loop: Header=BB15_51 Depth=2
	s_or_b64 exec, exec, s[4:5]
	s_mov_b64 s[0:1], exec
.LBB15_58:                              ;   in Loop: Header=BB15_51 Depth=2
	s_or_b64 exec, exec, s[2:3]
	v_readlane_b32 s10, v79, 50
	s_orn2_b64 s[0:1], s[0:1], exec
	v_readlane_b32 s11, v79, 51
.LBB15_59:                              ;   in Loop: Header=BB15_51 Depth=2
	s_or_b64 exec, exec, s[66:67]
	s_mov_b64 s[2:3], -1
	s_and_saveexec_b64 s[4:5], s[0:1]
	s_cbranch_execz .LBB15_50
; %bb.60:                               ;   in Loop: Header=BB15_51 Depth=2
	s_add_i32 s65, s65, 1
	v_cmp_eq_u32_e32 vcc, s65, v63
	v_lshl_add_u64 v[74:75], v[74:75], 0, 4
	s_add_i32 s68, s68, -1
	s_xor_b64 s[2:3], exec, -1
	s_orn2_b64 s[86:87], vcc, exec
	s_branch .LBB15_50
.LBB15_61:                              ;   in Loop: Header=BB15_4 Depth=1
	s_or_b64 exec, exec, s[38:39]
	s_orn2_b64 s[0:1], s[70:71], exec
	s_mov_b64 s[66:67], s[80:81]
	s_movk_i32 s65, 0xf0
.LBB15_62:                              ;   in Loop: Header=BB15_4 Depth=1
	s_or_b64 exec, exec, s[84:85]
	s_mov_b64 s[2:3], s[10:11]
	s_and_saveexec_b64 s[4:5], s[0:1]
	s_cbranch_execz .LBB15_64
; %bb.63:                               ;   in Loop: Header=BB15_4 Depth=1
	global_load_dword v0, v[76:77], off offset:20
	v_lshlrev_b32_e32 v1, 27, v78
	s_mov_b32 s0, 0x87ffffff
	s_or_b64 s[2:3], s[10:11], exec
	s_waitcnt vmcnt(0)
	v_and_or_b32 v0, v0, s0, v1
	global_store_dword v[76:77], v0, off offset:20
.LBB15_64:                              ;   in Loop: Header=BB15_4 Depth=1
	s_or_b64 exec, exec, s[4:5]
	s_andn2_b64 s[4:5], s[10:11], exec
	s_and_b64 s[2:3], s[2:3], exec
	s_mov_b64 s[0:1], exec
	s_xor_b64 s[6:7], exec, -1
	s_or_b64 s[2:3], s[4:5], s[2:3]
.LBB15_65:                              ;   in Loop: Header=BB15_4 Depth=1
	s_or_b64 exec, exec, s[82:83]
	s_andn2_b64 s[4:5], s[10:11], exec
	s_and_b64 s[2:3], s[2:3], exec
	s_or_b64 s[4:5], s[4:5], s[2:3]
.LBB15_66:                              ;   in Loop: Header=BB15_4 Depth=1
	v_readlane_b32 s2, v79, 48
	v_readlane_b32 s3, v79, 49
	s_or_b64 exec, exec, s[2:3]
	s_orn2_b64 s[2:3], s[4:5], exec
.LBB15_67:                              ;   in Loop: Header=BB15_4 Depth=1
	v_readlane_b32 s4, v79, 46
	v_readlane_b32 s5, v79, 47
	s_or_b64 exec, exec, s[4:5]
	s_andn2_b64 s[8:9], s[96:97], exec
	s_and_b64 s[0:1], s[0:1], exec
	s_or_b64 s[8:9], s[8:9], s[0:1]
	s_andn2_b64 s[0:1], s[54:55], exec
	s_and_b64 s[6:7], s[6:7], exec
	s_mov_b64 s[4:5], -1
	s_or_b64 s[6:7], s[0:1], s[6:7]
	s_and_saveexec_b64 s[0:1], s[2:3]
	s_cbranch_execz .LBB15_3
; %bb.68:                               ;   in Loop: Header=BB15_4 Depth=1
	s_add_i32 s64, s64, 1
	s_cmp_eq_u32 s64, 8
	s_cselect_b64 s[2:3], -1, 0
	s_andn2_b64 s[8:9], s[8:9], exec
	s_andn2_b64 s[6:7], s[6:7], exec
	s_orn2_b64 s[4:5], s[2:3], exec
	s_branch .LBB15_3
.LBB15_69:
	s_or_b64 exec, exec, s[98:99]
	v_readlane_b32 s0, v79, 52
	v_readlane_b32 s1, v79, 53
	s_xor_b64 s[0:1], s[0:1], -1
	s_xor_b64 s[2:3], s[2:3], -1
	s_mov_b64 s[24:25], 0
	s_and_saveexec_b64 s[4:5], s[2:3]
	v_readlane_b32 s28, v79, 16
	s_xor_b64 s[22:23], exec, s[4:5]
	v_readlane_b32 s29, v79, 17
	s_cbranch_execnz .LBB15_77
; %bb.70:
	s_andn2_saveexec_b64 s[22:23], s[22:23]
	s_cbranch_execnz .LBB15_88
.LBB15_71:
	s_or_b64 exec, exec, s[22:23]
	s_and_saveexec_b64 s[0:1], s[24:25]
.LBB15_72:
	; divergent unreachable
.LBB15_73:
	s_or_b64 exec, exec, s[0:1]
                                        ; implicit-def: $vgpr46_vgpr47
.LBB15_74:
	s_andn2_saveexec_b64 s[0:1], s[28:29]
	s_cbranch_execz .LBB15_76
; %bb.75:
	v_readlane_b32 s0, v79, 0
	v_readlane_b32 s1, v79, 1
	;; [unrolled: 1-line block ×4, first 2 shown]
	v_mov_b32_e32 v2, 0
	v_readlane_b32 s2, v79, 2
	v_mad_i64_i32 v[0:1], s[0:1], v46, 28, s[14:15]
	v_readlane_b32 s3, v79, 3
	v_readlane_b32 s4, v79, 4
	;; [unrolled: 1-line block ×11, first 2 shown]
	global_store_byte v[0:1], v2, off offset:52
.LBB15_76:
	s_endpgm
.LBB15_77:
	s_and_saveexec_b64 s[2:3], s[0:1]
	s_xor_b64 s[0:1], exec, s[2:3]
	s_cbranch_execz .LBB15_85
; %bb.78:
	v_cmp_ne_u32_e32 vcc, -1, v56
	s_and_saveexec_b64 s[2:3], vcc
	s_xor_b64 s[2:3], exec, s[2:3]
	s_cbranch_execz .LBB15_82
; %bb.79:
	s_mov_b64 s[6:7], exec
	v_mbcnt_lo_u32_b32 v0, s6, 0
	v_mbcnt_hi_u32_b32 v0, s7, v0
	v_cmp_eq_u32_e32 vcc, 0, v0
	s_and_saveexec_b64 s[4:5], vcc
	s_cbranch_execz .LBB15_81
; %bb.80:
	v_mov_b32_e32 v0, 0
	s_getpc_b64 s[8:9]
	s_add_u32 s8, s8, GPUexpected@rel32@lo+4
	s_addc_u32 s9, s9, GPUexpected@rel32@hi+12
	global_load_dwordx2 v[0:1], v0, s[8:9]
	s_bcnt1_i32_b64 s6, s[6:7]
	v_mov_b32_e32 v2, s6
	s_waitcnt vmcnt(0)
	global_atomic_add v[0:1], v2, off
.LBB15_81:
	s_or_b64 exec, exec, s[4:5]
	s_load_dwordx16 s[4:19], s[44:45], 0x8
	v_add_u32_e32 v0, v56, v43
	v_mov_b32_e32 v12, 1
	s_waitcnt lgkmcnt(0)
	s_mov_b64 s[26:27], s[18:19]
	s_mov_b64 s[24:25], s[16:17]
	;; [unrolled: 1-line block ×3, first 2 shown]
	v_mad_i64_i32 v[8:9], s[4:5], v0, 28, s[24:25]
	global_load_dwordx4 v[0:3], v[8:9], off offset:12
	global_load_dwordx4 v[4:7], v[8:9], off
	v_mov_b32_e32 v8, s12
	v_mov_b32_e32 v9, s13
	v_mad_i64_i32 v[10:11], s[4:5], v46, 28, s[26:27]
	v_lshl_add_u64 v[8:9], v[46:47], 2, v[8:9]
                                        ; implicit-def: $vgpr46_vgpr47
	s_waitcnt vmcnt(1)
	global_store_dwordx4 v[10:11], v[0:3], off offset:40
	s_waitcnt vmcnt(1)
	global_store_dwordx4 v[10:11], v[4:7], off offset:28
	global_store_byte v[10:11], v12, off offset:52
	global_store_dword v[8:9], v44, off offset:4
.LBB15_82:
	s_andn2_saveexec_b64 s[2:3], s[2:3]
	s_cbranch_execz .LBB15_84
; %bb.83:
	s_load_dwordx16 s[4:19], s[44:45], 0x8
	v_mov_b32_e32 v2, 0
	s_waitcnt lgkmcnt(0)
	v_mad_i64_i32 v[0:1], s[4:5], v46, 28, s[18:19]
	global_store_byte v[0:1], v2, off offset:52
.LBB15_84:
	s_or_b64 exec, exec, s[2:3]
.LBB15_85:
	s_or_saveexec_b64 s[24:25], s[0:1]
	s_mov_b64 s[0:1], 0
	s_xor_b64 exec, exec, s[24:25]
	s_cbranch_execz .LBB15_87
; %bb.86:
	s_add_u32 s8, s44, 0x70
	s_addc_u32 s9, s45, 0
	s_getpc_b64 s[0:1]
	s_add_u32 s0, s0, .str.2@rel32@lo+4
	s_addc_u32 s1, s1, .str.2@rel32@hi+12
	s_getpc_b64 s[2:3]
	s_add_u32 s2, s2, __PRETTY_FUNCTION__._Z16EvaluateNodeWaveiPiS_S_S_S_S_PN2rw3CutES2_S_PNS0_7LibraryEPNS0_9TableNodeEPKii@rel32@lo+4
	s_addc_u32 s3, s3, __PRETTY_FUNCTION__._Z16EvaluateNodeWaveiPiS_S_S_S_S_PN2rw3CutES2_S_PNS0_7LibraryEPNS0_9TableNodeEPKii@rel32@hi+12
	s_getpc_b64 s[4:5]
	s_add_u32 s4, s4, __assert_fail@rel32@lo+4
	s_addc_u32 s5, s5, __assert_fail@rel32@hi+12
	v_mov_b32_e32 v0, s0
	v_mov_b32_e32 v1, s1
	;; [unrolled: 1-line block ×5, first 2 shown]
	s_swappc_b64 s[30:31], s[4:5]
	s_mov_b64 s[0:1], exec
.LBB15_87:
	s_or_b64 exec, exec, s[24:25]
	s_and_b64 s[24:25], s[0:1], exec
	s_andn2_saveexec_b64 s[22:23], s[22:23]
	s_cbranch_execz .LBB15_71
.LBB15_88:
	s_add_u32 s8, s44, 0x70
	s_addc_u32 s9, s45, 0
	s_getpc_b64 s[0:1]
	s_add_u32 s0, s0, .str@rel32@lo+4
	s_addc_u32 s1, s1, .str@rel32@hi+12
	s_getpc_b64 s[2:3]
	s_add_u32 s2, s2, __PRETTY_FUNCTION__._Z16EvaluateNodeWaveiPiS_S_S_S_S_PN2rw3CutES2_S_PNS0_7LibraryEPNS0_9TableNodeEPKii@rel32@lo+4
	s_addc_u32 s3, s3, __PRETTY_FUNCTION__._Z16EvaluateNodeWaveiPiS_S_S_S_S_PN2rw3CutES2_S_PNS0_7LibraryEPNS0_9TableNodeEPKii@rel32@hi+12
	s_getpc_b64 s[4:5]
	s_add_u32 s4, s4, __assert_fail@rel32@lo+4
	s_addc_u32 s5, s5, __assert_fail@rel32@hi+12
	v_mov_b32_e32 v0, s0
	v_mov_b32_e32 v1, s1
	;; [unrolled: 1-line block ×5, first 2 shown]
	s_swappc_b64 s[30:31], s[4:5]
	s_or_b64 s[24:25], s[24:25], exec
	s_or_b64 exec, exec, s[22:23]
	s_and_saveexec_b64 s[0:1], s[24:25]
	s_cbranch_execnz .LBB15_72
	s_branch .LBB15_73
	.section	.rodata,"a",@progbits
	.p2align	6, 0x0
	.amdhsa_kernel _Z16EvaluateNodeWaveiPiS_S_S_S_S_PN2rw3CutES2_S_PNS0_7LibraryEPNS0_9TableNodeEPKii
		.amdhsa_group_segment_fixed_size 0
		.amdhsa_private_segment_fixed_size 608
		.amdhsa_kernarg_size 368
		.amdhsa_user_sgpr_count 2
		.amdhsa_user_sgpr_dispatch_ptr 0
		.amdhsa_user_sgpr_queue_ptr 0
		.amdhsa_user_sgpr_kernarg_segment_ptr 1
		.amdhsa_user_sgpr_dispatch_id 0
		.amdhsa_user_sgpr_kernarg_preload_length 0
		.amdhsa_user_sgpr_kernarg_preload_offset 0
		.amdhsa_user_sgpr_private_segment_size 0
		.amdhsa_uses_dynamic_stack 1
		.amdhsa_enable_private_segment 1
		.amdhsa_system_sgpr_workgroup_id_x 1
		.amdhsa_system_sgpr_workgroup_id_y 0
		.amdhsa_system_sgpr_workgroup_id_z 0
		.amdhsa_system_sgpr_workgroup_info 0
		.amdhsa_system_vgpr_workitem_id 0
		.amdhsa_next_free_vgpr 80
		.amdhsa_next_free_sgpr 100
		.amdhsa_accum_offset 80
		.amdhsa_reserve_vcc 1
		.amdhsa_float_round_mode_32 0
		.amdhsa_float_round_mode_16_64 0
		.amdhsa_float_denorm_mode_32 3
		.amdhsa_float_denorm_mode_16_64 3
		.amdhsa_dx10_clamp 1
		.amdhsa_ieee_mode 1
		.amdhsa_fp16_overflow 0
		.amdhsa_tg_split 0
		.amdhsa_exception_fp_ieee_invalid_op 0
		.amdhsa_exception_fp_denorm_src 0
		.amdhsa_exception_fp_ieee_div_zero 0
		.amdhsa_exception_fp_ieee_overflow 0
		.amdhsa_exception_fp_ieee_underflow 0
		.amdhsa_exception_fp_ieee_inexact 0
		.amdhsa_exception_int_div_zero 0
	.end_amdhsa_kernel
	.text
.Lfunc_end15:
	.size	_Z16EvaluateNodeWaveiPiS_S_S_S_S_PN2rw3CutES2_S_PNS0_7LibraryEPNS0_9TableNodeEPKii, .Lfunc_end15-_Z16EvaluateNodeWaveiPiS_S_S_S_S_PN2rw3CutES2_S_PNS0_7LibraryEPNS0_9TableNodeEPKii
                                        ; -- End function
	.set _Z16EvaluateNodeWaveiPiS_S_S_S_S_PN2rw3CutES2_S_PNS0_7LibraryEPNS0_9TableNodeEPKii.num_vgpr, max(80, .L_Z8CalcMFFCiPN2rw3CutEPiS2_S2_S2_S2_S2_i.num_vgpr, .L_Z4EvaliPiiPN2rw7LibraryEi.num_vgpr, .L__assert_fail.num_vgpr)
	.set _Z16EvaluateNodeWaveiPiS_S_S_S_S_PN2rw3CutES2_S_PNS0_7LibraryEPNS0_9TableNodeEPKii.num_agpr, max(0, .L_Z8CalcMFFCiPN2rw3CutEPiS2_S2_S2_S2_S2_i.num_agpr, .L_Z4EvaliPiiPN2rw7LibraryEi.num_agpr, .L__assert_fail.num_agpr)
	.set _Z16EvaluateNodeWaveiPiS_S_S_S_S_PN2rw3CutES2_S_PNS0_7LibraryEPNS0_9TableNodeEPKii.numbered_sgpr, max(100, .L_Z8CalcMFFCiPN2rw3CutEPiS2_S2_S2_S2_S2_i.numbered_sgpr, .L_Z4EvaliPiiPN2rw7LibraryEi.numbered_sgpr, .L__assert_fail.numbered_sgpr)
	.set _Z16EvaluateNodeWaveiPiS_S_S_S_S_PN2rw3CutES2_S_PNS0_7LibraryEPNS0_9TableNodeEPKii.num_named_barrier, max(0, .L_Z8CalcMFFCiPN2rw3CutEPiS2_S2_S2_S2_S2_i.num_named_barrier, .L_Z4EvaliPiiPN2rw7LibraryEi.num_named_barrier, .L__assert_fail.num_named_barrier)
	.set _Z16EvaluateNodeWaveiPiS_S_S_S_S_PN2rw3CutES2_S_PNS0_7LibraryEPNS0_9TableNodeEPKii.private_seg_size, 512+max(.L_Z8CalcMFFCiPN2rw3CutEPiS2_S2_S2_S2_S2_i.private_seg_size, .L_Z4EvaliPiiPN2rw7LibraryEi.private_seg_size, .L__assert_fail.private_seg_size)
	.set _Z16EvaluateNodeWaveiPiS_S_S_S_S_PN2rw3CutES2_S_PNS0_7LibraryEPNS0_9TableNodeEPKii.uses_vcc, or(1, .L_Z8CalcMFFCiPN2rw3CutEPiS2_S2_S2_S2_S2_i.uses_vcc, .L_Z4EvaliPiiPN2rw7LibraryEi.uses_vcc, .L__assert_fail.uses_vcc)
	.set _Z16EvaluateNodeWaveiPiS_S_S_S_S_PN2rw3CutES2_S_PNS0_7LibraryEPNS0_9TableNodeEPKii.uses_flat_scratch, or(0, .L_Z8CalcMFFCiPN2rw3CutEPiS2_S2_S2_S2_S2_i.uses_flat_scratch, .L_Z4EvaliPiiPN2rw7LibraryEi.uses_flat_scratch, .L__assert_fail.uses_flat_scratch)
	.set _Z16EvaluateNodeWaveiPiS_S_S_S_S_PN2rw3CutES2_S_PNS0_7LibraryEPNS0_9TableNodeEPKii.has_dyn_sized_stack, or(0, .L_Z8CalcMFFCiPN2rw3CutEPiS2_S2_S2_S2_S2_i.has_dyn_sized_stack, .L_Z4EvaliPiiPN2rw7LibraryEi.has_dyn_sized_stack, .L__assert_fail.has_dyn_sized_stack)
	.set _Z16EvaluateNodeWaveiPiS_S_S_S_S_PN2rw3CutES2_S_PNS0_7LibraryEPNS0_9TableNodeEPKii.has_recursion, or(1, .L_Z8CalcMFFCiPN2rw3CutEPiS2_S2_S2_S2_S2_i.has_recursion, .L_Z4EvaliPiiPN2rw7LibraryEi.has_recursion, .L__assert_fail.has_recursion)
	.set _Z16EvaluateNodeWaveiPiS_S_S_S_S_PN2rw3CutES2_S_PNS0_7LibraryEPNS0_9TableNodeEPKii.has_indirect_call, or(0, .L_Z8CalcMFFCiPN2rw3CutEPiS2_S2_S2_S2_S2_i.has_indirect_call, .L_Z4EvaliPiiPN2rw7LibraryEi.has_indirect_call, .L__assert_fail.has_indirect_call)
	.section	.AMDGPU.csdata,"",@progbits
; Kernel info:
; codeLenInByte = 5648
; TotalNumSgprs: 106
; NumVgprs: 80
; NumAgprs: 0
; TotalNumVgprs: 80
; ScratchSize: 608
; MemoryBound: 0
; FloatMode: 240
; IeeeMode: 1
; LDSByteSize: 0 bytes/workgroup (compile time only)
; SGPRBlocks: 13
; VGPRBlocks: 9
; NumSGPRsForWavesPerEU: 106
; NumVGPRsForWavesPerEU: 80
; AccumOffset: 80
; Occupancy: 6
; WaveLimiterHint : 1
; COMPUTE_PGM_RSRC2:SCRATCH_EN: 1
; COMPUTE_PGM_RSRC2:USER_SGPR: 2
; COMPUTE_PGM_RSRC2:TRAP_HANDLER: 0
; COMPUTE_PGM_RSRC2:TGID_X_EN: 1
; COMPUTE_PGM_RSRC2:TGID_Y_EN: 0
; COMPUTE_PGM_RSRC2:TGID_Z_EN: 0
; COMPUTE_PGM_RSRC2:TIDIG_COMP_CNT: 0
; COMPUTE_PGM_RSRC3_GFX90A:ACCUM_OFFSET: 19
; COMPUTE_PGM_RSRC3_GFX90A:TG_SPLIT: 0
	.text
	.p2alignl 6, 3212836864
	.fill 256, 4, 3212836864
	.section	.AMDGPU.gpr_maximums,"",@progbits
	.set amdgpu.max_num_vgpr, 92
	.set amdgpu.max_num_agpr, 0
	.set amdgpu.max_num_sgpr, 38
	.text
	.type	__const.__assert_fail.fmt,@object ; @__const.__assert_fail.fmt
	.section	.rodata.str1.16,"aMS",@progbits,1
	.p2align	4, 0x0
__const.__assert_fail.fmt:
	.asciz	"%s:%u: %s: Device-side assertion `%s' failed.\n"
	.size	__const.__assert_fail.fmt, 47

	.protected	P.managed               ; @P.managed
	.type	P.managed,@object
	.section	.bss,"aw",@nobits
	.globl	P.managed
	.p2align	2, 0x0
P.managed:
	.long	0                               ; 0x0
	.size	P.managed, 4

	.protected	N.managed               ; @N.managed
	.type	N.managed,@object
	.globl	N.managed
	.p2align	2, 0x0
N.managed:
	.long	0                               ; 0x0
	.size	N.managed, 4

	.protected	GPUexpected.managed     ; @GPUexpected.managed
	.type	GPUexpected.managed,@object
	.globl	GPUexpected.managed
	.p2align	2, 0x0
GPUexpected.managed:
	.long	0                               ; 0x0
	.size	GPUexpected.managed, 4

	.protected	replaceHasFullCorrsp.managed ; @replaceHasFullCorrsp.managed
	.type	replaceHasFullCorrsp.managed,@object
	.globl	replaceHasFullCorrsp.managed
	.p2align	2, 0x0
replaceHasFullCorrsp.managed:
	.long	0                               ; 0x0
	.size	replaceHasFullCorrsp.managed, 4

	.type	__const._Z18MinimizeCutSupportPN2rw3CutE.masks,@object ; @__const._Z18MinimizeCutSupportPN2rw3CutE.masks
	.section	.rodata.cst32,"aM",@progbits,32
	.p2align	4, 0x0
__const._Z18MinimizeCutSupportPN2rw3CutE.masks:
	.long	21845                           ; 0x5555
	.long	43690                           ; 0xaaaa
	;; [unrolled: 1-line block ×4, first 2 shown]
	.long	3855                            ; 0xf0f
	.long	61680                           ; 0xf0f0
	.long	255                             ; 0xff
	.long	65280                           ; 0xff00
	.size	__const._Z18MinimizeCutSupportPN2rw3CutE.masks, 32

	.type	.str,@object                    ; @.str
	.section	.rodata.str1.1,"aMS",@progbits,1
.str:
	.asciz	"matchLevel[in0] != -1 && matchLevel[in1] != -1"
	.size	.str, 47

	.type	.str.1,@object                  ; @.str.1
.str.1:
	.asciz	"/root/src/amdgpu-assembly/repos/zjin-lcf__HeCBench/src/logic-rewrite-hip/rewrite.cu"
	.size	.str.1, 84

	.type	__PRETTY_FUNCTION__._Z12EvaluateNodeiPiS_S_S_S_S_PN2rw3CutES2_S_PNS0_7LibraryEPNS0_9TableNodeEi,@object ; @__PRETTY_FUNCTION__._Z12EvaluateNodeiPiS_S_S_S_S_PN2rw3CutES2_S_PNS0_7LibraryEPNS0_9TableNodeEi
__PRETTY_FUNCTION__._Z12EvaluateNodeiPiS_S_S_S_S_PN2rw3CutES2_S_PNS0_7LibraryEPNS0_9TableNodeEi:
	.asciz	"void EvaluateNode(int, int *, int *, int *, int *, int *, int *, Cut *, Cut *, int *, Library *, TableNode *, int)"
	.size	__PRETTY_FUNCTION__._Z12EvaluateNodeiPiS_S_S_S_S_PN2rw3CutES2_S_PNS0_7LibraryEPNS0_9TableNodeEi, 115

	.type	.str.2,@object                  ; @.str.2
.str.2:
	.asciz	"rtLevel != -1"
	.size	.str.2, 14

	.type	.str.3,@object                  ; @.str.3
.str.3:
	.asciz	"cut#%d details: truthtable %d, used%d, nLeaves=%d, leaves=%d %d %d %d\n"
	.size	.str.3, 71

	.type	.str.4,@object                  ; @.str.4
.str.4:
	.asciz	"Selected %d: %d %d\n"
	.size	.str.4, 20

	.type	__PRETTY_FUNCTION__._Z16EvaluateNodeWaveiPiS_S_S_S_S_PN2rw3CutES2_S_PNS0_7LibraryEPNS0_9TableNodeEPKii,@object ; @__PRETTY_FUNCTION__._Z16EvaluateNodeWaveiPiS_S_S_S_S_PN2rw3CutES2_S_PNS0_7LibraryEPNS0_9TableNodeEPKii
__PRETTY_FUNCTION__._Z16EvaluateNodeWaveiPiS_S_S_S_S_PN2rw3CutES2_S_PNS0_7LibraryEPNS0_9TableNodeEPKii:
	.asciz	"void EvaluateNodeWave(int, int *, int *, int *, int *, int *, int *, Cut *, Cut *, int *, Library *, TableNode *, const int *, int)"
	.size	__PRETTY_FUNCTION__._Z16EvaluateNodeWaveiPiS_S_S_S_S_PN2rw3CutES2_S_PNS0_7LibraryEPNS0_9TableNodeEPKii, 132

	.protected	P                       ; @P
	.type	P,@object
	.section	.bss,"aw",@nobits
	.globl	P
	.p2align	3, 0x0
P:
	.quad	0
	.size	P, 8

	.protected	N                       ; @N
	.type	N,@object
	.globl	N
	.p2align	3, 0x0
N:
	.quad	0
	.size	N, 8

	.protected	GPUexpected             ; @GPUexpected
	.type	GPUexpected,@object
	.globl	GPUexpected
	.p2align	3, 0x0
GPUexpected:
	.quad	0
	.size	GPUexpected, 8

	.protected	replaceHasFullCorrsp    ; @replaceHasFullCorrsp
	.type	replaceHasFullCorrsp,@object
	.globl	replaceHasFullCorrsp
	.p2align	3, 0x0
replaceHasFullCorrsp:
	.quad	0
	.size	replaceHasFullCorrsp, 8

	.type	__hip_cuid_749dcc4c48927952,@object ; @__hip_cuid_749dcc4c48927952
	.globl	__hip_cuid_749dcc4c48927952
__hip_cuid_749dcc4c48927952:
	.byte	0                               ; 0x0
	.size	__hip_cuid_749dcc4c48927952, 1

	.ident	"AMD clang version 22.0.0git (https://github.com/RadeonOpenCompute/llvm-project roc-7.2.4 26084 f58b06dce1f9c15707c5f808fd002e18c2accf7e)"
	.section	".note.GNU-stack","",@progbits
	.addrsig
	.addrsig_sym P.managed
	.addrsig_sym N.managed
	.addrsig_sym GPUexpected.managed
	.addrsig_sym replaceHasFullCorrsp.managed
	.addrsig_sym P
	.addrsig_sym N
	.addrsig_sym GPUexpected
	.addrsig_sym replaceHasFullCorrsp
	.addrsig_sym __hip_cuid_749dcc4c48927952
	.amdgpu_metadata
---
amdhsa.kernels:
  - .agpr_count:     0
    .args:
      - .address_space:  global
        .offset:         0
        .size:           8
        .value_kind:     global_buffer
      - .address_space:  global
        .offset:         8
        .size:           8
        .value_kind:     global_buffer
      - .offset:         16
        .size:           4
        .value_kind:     by_value
      - .offset:         24
        .size:           4
        .value_kind:     hidden_block_count_x
      - .offset:         28
        .size:           4
        .value_kind:     hidden_block_count_y
      - .offset:         32
        .size:           4
        .value_kind:     hidden_block_count_z
      - .offset:         36
        .size:           2
        .value_kind:     hidden_group_size_x
      - .offset:         38
        .size:           2
        .value_kind:     hidden_group_size_y
      - .offset:         40
        .size:           2
        .value_kind:     hidden_group_size_z
      - .offset:         42
        .size:           2
        .value_kind:     hidden_remainder_x
      - .offset:         44
        .size:           2
        .value_kind:     hidden_remainder_y
      - .offset:         46
        .size:           2
        .value_kind:     hidden_remainder_z
      - .offset:         64
        .size:           8
        .value_kind:     hidden_global_offset_x
      - .offset:         72
        .size:           8
        .value_kind:     hidden_global_offset_y
      - .offset:         80
        .size:           8
        .value_kind:     hidden_global_offset_z
      - .offset:         88
        .size:           2
        .value_kind:     hidden_grid_dims
    .group_segment_fixed_size: 0
    .kernarg_segment_align: 8
    .kernarg_segment_size: 280
    .language:       OpenCL C
    .language_version:
      - 2
      - 0
    .max_flat_workgroup_size: 1024
    .name:           _Z6InputsPiPN2rw3CutEi
    .private_segment_fixed_size: 0
    .sgpr_count:     11
    .sgpr_spill_count: 0
    .symbol:         _Z6InputsPiPN2rw3CutEi.kd
    .uniform_work_group_size: 1
    .uses_dynamic_stack: false
    .vgpr_count:     5
    .vgpr_spill_count: 0
    .wavefront_size: 64
  - .agpr_count:     0
    .args:
      - .address_space:  global
        .offset:         0
        .size:           8
        .value_kind:     global_buffer
      - .address_space:  global
        .offset:         8
        .size:           8
        .value_kind:     global_buffer
      - .address_space:  global
        .offset:         16
        .size:           8
        .value_kind:     global_buffer
      - .address_space:  global
        .offset:         24
        .size:           8
        .value_kind:     global_buffer
      - .address_space:  global
        .offset:         32
        .size:           8
        .value_kind:     global_buffer
      - .address_space:  global
        .offset:         40
        .size:           8
        .value_kind:     global_buffer
      - .offset:         48
        .size:           4
        .value_kind:     by_value
      - .offset:         52
        .size:           4
        .value_kind:     by_value
      - .offset:         56
        .size:           4
        .value_kind:     hidden_block_count_x
      - .offset:         60
        .size:           4
        .value_kind:     hidden_block_count_y
      - .offset:         64
        .size:           4
        .value_kind:     hidden_block_count_z
      - .offset:         68
        .size:           2
        .value_kind:     hidden_group_size_x
      - .offset:         70
        .size:           2
        .value_kind:     hidden_group_size_y
      - .offset:         72
        .size:           2
        .value_kind:     hidden_group_size_z
      - .offset:         74
        .size:           2
        .value_kind:     hidden_remainder_x
      - .offset:         76
        .size:           2
        .value_kind:     hidden_remainder_y
      - .offset:         78
        .size:           2
        .value_kind:     hidden_remainder_z
      - .offset:         96
        .size:           8
        .value_kind:     hidden_global_offset_x
      - .offset:         104
        .size:           8
        .value_kind:     hidden_global_offset_y
      - .offset:         112
        .size:           8
        .value_kind:     hidden_global_offset_z
      - .offset:         120
        .size:           2
        .value_kind:     hidden_grid_dims
    .group_segment_fixed_size: 60416
    .kernarg_segment_align: 8
    .kernarg_segment_size: 312
    .language:       OpenCL C
    .language_version:
      - 2
      - 0
    .max_flat_workgroup_size: 1024
    .name:           _Z12CutEnumeratePiS_S_S_S_PN2rw3CutEii
    .private_segment_fixed_size: 340
    .sgpr_count:     83
    .sgpr_spill_count: 0
    .symbol:         _Z12CutEnumeratePiS_S_S_S_PN2rw3CutEii.kd
    .uniform_work_group_size: 1
    .uses_dynamic_stack: false
    .vgpr_count:     56
    .vgpr_spill_count: 0
    .wavefront_size: 64
  - .agpr_count:     0
    .args:
      - .offset:         0
        .size:           4
        .value_kind:     by_value
      - .address_space:  global
        .offset:         8
        .size:           8
        .value_kind:     global_buffer
      - .address_space:  global
        .offset:         16
        .size:           8
        .value_kind:     global_buffer
      - .address_space:  global
        .offset:         24
        .size:           8
        .value_kind:     global_buffer
      - .address_space:  global
        .offset:         32
        .size:           8
        .value_kind:     global_buffer
      - .address_space:  global
        .offset:         40
        .size:           8
        .value_kind:     global_buffer
      - .address_space:  global
        .offset:         48
        .size:           8
        .value_kind:     global_buffer
      - .address_space:  global
        .offset:         56
        .size:           8
        .value_kind:     global_buffer
      - .address_space:  global
        .offset:         64
        .size:           8
        .value_kind:     global_buffer
      - .address_space:  global
        .offset:         72
        .size:           8
        .value_kind:     global_buffer
      - .address_space:  global
        .offset:         80
        .size:           8
        .value_kind:     global_buffer
      - .address_space:  global
        .offset:         88
        .size:           8
        .value_kind:     global_buffer
      - .offset:         96
        .size:           4
        .value_kind:     by_value
      - .offset:         104
        .size:           4
        .value_kind:     hidden_block_count_x
      - .offset:         108
        .size:           4
        .value_kind:     hidden_block_count_y
      - .offset:         112
        .size:           4
        .value_kind:     hidden_block_count_z
      - .offset:         116
        .size:           2
        .value_kind:     hidden_group_size_x
      - .offset:         118
        .size:           2
        .value_kind:     hidden_group_size_y
      - .offset:         120
        .size:           2
        .value_kind:     hidden_group_size_z
      - .offset:         122
        .size:           2
        .value_kind:     hidden_remainder_x
      - .offset:         124
        .size:           2
        .value_kind:     hidden_remainder_y
      - .offset:         126
        .size:           2
        .value_kind:     hidden_remainder_z
      - .offset:         144
        .size:           8
        .value_kind:     hidden_global_offset_x
      - .offset:         152
        .size:           8
        .value_kind:     hidden_global_offset_y
      - .offset:         160
        .size:           8
        .value_kind:     hidden_global_offset_z
      - .offset:         168
        .size:           2
        .value_kind:     hidden_grid_dims
      - .offset:         184
        .size:           8
        .value_kind:     hidden_hostcall_buffer
    .group_segment_fixed_size: 0
    .kernarg_segment_align: 8
    .kernarg_segment_size: 360
    .language:       OpenCL C
    .language_version:
      - 2
      - 0
    .max_flat_workgroup_size: 1024
    .name:           _Z12EvaluateNodeiPiS_S_S_S_S_PN2rw3CutES2_S_PNS0_7LibraryEPNS0_9TableNodeEi
    .private_segment_fixed_size: 608
    .sgpr_count:     106
    .sgpr_spill_count: 58
    .symbol:         _Z12EvaluateNodeiPiS_S_S_S_S_PN2rw3CutES2_S_PNS0_7LibraryEPNS0_9TableNodeEi.kd
    .uniform_work_group_size: 1
    .uses_dynamic_stack: true
    .vgpr_count:     79
    .vgpr_spill_count: 0
    .wavefront_size: 64
  - .agpr_count:     0
    .args:
      - .address_space:  global
        .offset:         0
        .size:           8
        .value_kind:     global_buffer
      - .offset:         8
        .size:           4
        .value_kind:     by_value
      - .address_space:  global
        .offset:         16
        .size:           8
        .value_kind:     global_buffer
      - .address_space:  global
        .offset:         24
        .size:           8
        .value_kind:     global_buffer
      - .address_space:  global
        .offset:         32
        .size:           8
        .value_kind:     global_buffer
      - .address_space:  global
        .offset:         40
        .size:           8
        .value_kind:     global_buffer
      - .offset:         48
        .size:           4
        .value_kind:     hidden_block_count_x
      - .offset:         52
        .size:           4
        .value_kind:     hidden_block_count_y
      - .offset:         56
        .size:           4
        .value_kind:     hidden_block_count_z
      - .offset:         60
        .size:           2
        .value_kind:     hidden_group_size_x
      - .offset:         62
        .size:           2
        .value_kind:     hidden_group_size_y
      - .offset:         64
        .size:           2
        .value_kind:     hidden_group_size_z
      - .offset:         66
        .size:           2
        .value_kind:     hidden_remainder_x
      - .offset:         68
        .size:           2
        .value_kind:     hidden_remainder_y
      - .offset:         70
        .size:           2
        .value_kind:     hidden_remainder_z
      - .offset:         88
        .size:           8
        .value_kind:     hidden_global_offset_x
      - .offset:         96
        .size:           8
        .value_kind:     hidden_global_offset_y
      - .offset:         104
        .size:           8
        .value_kind:     hidden_global_offset_z
      - .offset:         112
        .size:           2
        .value_kind:     hidden_grid_dims
    .group_segment_fixed_size: 0
    .kernarg_segment_align: 8
    .kernarg_segment_size: 304
    .language:       OpenCL C
    .language_version:
      - 2
      - 0
    .max_flat_workgroup_size: 1024
    .name:           _Z14BuildHashTablePN2rw9TableNodeEiPiS2_S2_S2_
    .private_segment_fixed_size: 0
    .sgpr_count:     22
    .sgpr_spill_count: 0
    .symbol:         _Z14BuildHashTablePN2rw9TableNodeEiPiS2_S2_S2_.kd
    .uniform_work_group_size: 1
    .uses_dynamic_stack: false
    .vgpr_count:     12
    .vgpr_spill_count: 0
    .wavefront_size: 64
  - .agpr_count:     0
    .args:
      - .offset:         0
        .size:           4
        .value_kind:     by_value
      - .address_space:  global
        .offset:         8
        .size:           8
        .value_kind:     global_buffer
      - .address_space:  global
        .offset:         16
        .size:           8
        .value_kind:     global_buffer
      - .address_space:  global
        .offset:         24
        .size:           8
        .value_kind:     global_buffer
      - .address_space:  global
        .offset:         32
        .size:           8
        .value_kind:     global_buffer
      - .address_space:  global
        .offset:         40
        .size:           8
        .value_kind:     global_buffer
      - .address_space:  global
        .offset:         48
        .size:           8
        .value_kind:     global_buffer
      - .address_space:  global
        .offset:         56
        .size:           8
        .value_kind:     global_buffer
      - .address_space:  global
        .offset:         64
        .size:           8
        .value_kind:     global_buffer
      - .address_space:  global
        .offset:         72
        .size:           8
        .value_kind:     global_buffer
      - .address_space:  global
        .offset:         80
        .size:           8
        .value_kind:     global_buffer
      - .address_space:  global
        .offset:         88
        .size:           8
        .value_kind:     global_buffer
      - .offset:         96
        .size:           4
        .value_kind:     hidden_block_count_x
      - .offset:         100
        .size:           4
        .value_kind:     hidden_block_count_y
      - .offset:         104
        .size:           4
        .value_kind:     hidden_block_count_z
      - .offset:         108
        .size:           2
        .value_kind:     hidden_group_size_x
      - .offset:         110
        .size:           2
        .value_kind:     hidden_group_size_y
      - .offset:         112
        .size:           2
        .value_kind:     hidden_group_size_z
      - .offset:         114
        .size:           2
        .value_kind:     hidden_remainder_x
      - .offset:         116
        .size:           2
        .value_kind:     hidden_remainder_y
      - .offset:         118
        .size:           2
        .value_kind:     hidden_remainder_z
      - .offset:         136
        .size:           8
        .value_kind:     hidden_global_offset_x
      - .offset:         144
        .size:           8
        .value_kind:     hidden_global_offset_y
      - .offset:         152
        .size:           8
        .value_kind:     hidden_global_offset_z
      - .offset:         160
        .size:           2
        .value_kind:     hidden_grid_dims
    .group_segment_fixed_size: 0
    .kernarg_segment_align: 8
    .kernarg_segment_size: 352
    .language:       OpenCL C
    .language_version:
      - 2
      - 0
    .max_flat_workgroup_size: 1024
    .name:           _Z12ReplaceSubgriPiS_S_S_S_PN2rw3CutEPNS0_7LibraryEPNS0_9TableNodeES6_S_S_
    .private_segment_fixed_size: 384
    .sgpr_count:     58
    .sgpr_spill_count: 0
    .symbol:         _Z12ReplaceSubgriPiS_S_S_S_PN2rw3CutEPNS0_7LibraryEPNS0_9TableNodeES6_S_S_.kd
    .uniform_work_group_size: 1
    .uses_dynamic_stack: true
    .vgpr_count:     92
    .vgpr_spill_count: 0
    .wavefront_size: 64
  - .agpr_count:     0
    .args:
      - .offset:         0
        .size:           4
        .value_kind:     by_value
      - .address_space:  global
        .offset:         8
        .size:           8
        .value_kind:     global_buffer
      - .address_space:  global
        .offset:         16
        .size:           8
        .value_kind:     global_buffer
      - .address_space:  global
        .offset:         24
        .size:           8
        .value_kind:     global_buffer
      - .offset:         32
        .size:           4
        .value_kind:     hidden_block_count_x
      - .offset:         36
        .size:           4
        .value_kind:     hidden_block_count_y
      - .offset:         40
        .size:           4
        .value_kind:     hidden_block_count_z
      - .offset:         44
        .size:           2
        .value_kind:     hidden_group_size_x
      - .offset:         46
        .size:           2
        .value_kind:     hidden_group_size_y
      - .offset:         48
        .size:           2
        .value_kind:     hidden_group_size_z
      - .offset:         50
        .size:           2
        .value_kind:     hidden_remainder_x
      - .offset:         52
        .size:           2
        .value_kind:     hidden_remainder_y
      - .offset:         54
        .size:           2
        .value_kind:     hidden_remainder_z
      - .offset:         72
        .size:           8
        .value_kind:     hidden_global_offset_x
      - .offset:         80
        .size:           8
        .value_kind:     hidden_global_offset_y
      - .offset:         88
        .size:           8
        .value_kind:     hidden_global_offset_z
      - .offset:         96
        .size:           2
        .value_kind:     hidden_grid_dims
    .group_segment_fixed_size: 0
    .kernarg_segment_align: 8
    .kernarg_segment_size: 288
    .language:       OpenCL C
    .language_version:
      - 2
      - 0
    .max_flat_workgroup_size: 1024
    .name:           _Z15DetachAndAttachiPiS_S_
    .private_segment_fixed_size: 0
    .sgpr_count:     14
    .sgpr_spill_count: 0
    .symbol:         _Z15DetachAndAttachiPiS_S_.kd
    .uniform_work_group_size: 1
    .uses_dynamic_stack: false
    .vgpr_count:     7
    .vgpr_spill_count: 0
    .wavefront_size: 64
  - .agpr_count:     0
    .args:
      - .offset:         0
        .size:           4
        .value_kind:     by_value
      - .address_space:  global
        .offset:         8
        .size:           8
        .value_kind:     global_buffer
      - .offset:         16
        .size:           4
        .value_kind:     hidden_block_count_x
      - .offset:         20
        .size:           4
        .value_kind:     hidden_block_count_y
      - .offset:         24
        .size:           4
        .value_kind:     hidden_block_count_z
      - .offset:         28
        .size:           2
        .value_kind:     hidden_group_size_x
      - .offset:         30
        .size:           2
        .value_kind:     hidden_group_size_y
      - .offset:         32
        .size:           2
        .value_kind:     hidden_group_size_z
      - .offset:         34
        .size:           2
        .value_kind:     hidden_remainder_x
      - .offset:         36
        .size:           2
        .value_kind:     hidden_remainder_y
      - .offset:         38
        .size:           2
        .value_kind:     hidden_remainder_z
      - .offset:         56
        .size:           8
        .value_kind:     hidden_global_offset_x
      - .offset:         64
        .size:           8
        .value_kind:     hidden_global_offset_y
      - .offset:         72
        .size:           8
        .value_kind:     hidden_global_offset_z
      - .offset:         80
        .size:           2
        .value_kind:     hidden_grid_dims
      - .offset:         96
        .size:           8
        .value_kind:     hidden_hostcall_buffer
    .group_segment_fixed_size: 0
    .kernarg_segment_align: 8
    .kernarg_segment_size: 272
    .language:       OpenCL C
    .language_version:
      - 2
      - 0
    .max_flat_workgroup_size: 1024
    .name:           _Z9printCutsiPN2rw3CutE
    .private_segment_fixed_size: 0
    .sgpr_count:     32
    .sgpr_spill_count: 0
    .symbol:         _Z9printCutsiPN2rw3CutE.kd
    .uniform_work_group_size: 1
    .uses_dynamic_stack: false
    .vgpr_count:     48
    .vgpr_spill_count: 0
    .wavefront_size: 64
  - .agpr_count:     0
    .args:
      - .address_space:  global
        .offset:         0
        .size:           8
        .value_kind:     global_buffer
      - .address_space:  global
        .offset:         8
        .size:           8
        .value_kind:     global_buffer
      - .offset:         16
        .size:           4
        .value_kind:     by_value
      - .offset:         24
        .size:           4
        .value_kind:     hidden_block_count_x
      - .offset:         28
        .size:           4
        .value_kind:     hidden_block_count_y
      - .offset:         32
        .size:           4
        .value_kind:     hidden_block_count_z
      - .offset:         36
        .size:           2
        .value_kind:     hidden_group_size_x
      - .offset:         38
        .size:           2
        .value_kind:     hidden_group_size_y
      - .offset:         40
        .size:           2
        .value_kind:     hidden_group_size_z
      - .offset:         42
        .size:           2
        .value_kind:     hidden_remainder_x
      - .offset:         44
        .size:           2
        .value_kind:     hidden_remainder_y
      - .offset:         46
        .size:           2
        .value_kind:     hidden_remainder_z
      - .offset:         64
        .size:           8
        .value_kind:     hidden_global_offset_x
      - .offset:         72
        .size:           8
        .value_kind:     hidden_global_offset_y
      - .offset:         80
        .size:           8
        .value_kind:     hidden_global_offset_z
      - .offset:         88
        .size:           2
        .value_kind:     hidden_grid_dims
    .group_segment_fixed_size: 0
    .kernarg_segment_align: 8
    .kernarg_segment_size: 280
    .language:       OpenCL C
    .language_version:
      - 2
      - 0
    .max_flat_workgroup_size: 1024
    .name:           _Z7ConvertPiS_i
    .private_segment_fixed_size: 0
    .sgpr_count:     11
    .sgpr_spill_count: 0
    .symbol:         _Z7ConvertPiS_i.kd
    .uniform_work_group_size: 1
    .uses_dynamic_stack: false
    .vgpr_count:     5
    .vgpr_spill_count: 0
    .wavefront_size: 64
  - .agpr_count:     0
    .args:
      - .address_space:  global
        .offset:         0
        .size:           8
        .value_kind:     global_buffer
      - .address_space:  global
        .offset:         8
        .size:           8
        .value_kind:     global_buffer
      - .offset:         16
        .size:           4
        .value_kind:     by_value
      - .offset:         24
        .size:           4
        .value_kind:     hidden_block_count_x
      - .offset:         28
        .size:           4
        .value_kind:     hidden_block_count_y
      - .offset:         32
        .size:           4
        .value_kind:     hidden_block_count_z
      - .offset:         36
        .size:           2
        .value_kind:     hidden_group_size_x
      - .offset:         38
        .size:           2
        .value_kind:     hidden_group_size_y
      - .offset:         40
        .size:           2
        .value_kind:     hidden_group_size_z
      - .offset:         42
        .size:           2
        .value_kind:     hidden_remainder_x
      - .offset:         44
        .size:           2
        .value_kind:     hidden_remainder_y
      - .offset:         46
        .size:           2
        .value_kind:     hidden_remainder_z
      - .offset:         64
        .size:           8
        .value_kind:     hidden_global_offset_x
      - .offset:         72
        .size:           8
        .value_kind:     hidden_global_offset_y
      - .offset:         80
        .size:           8
        .value_kind:     hidden_global_offset_z
      - .offset:         88
        .size:           2
        .value_kind:     hidden_grid_dims
    .group_segment_fixed_size: 0
    .kernarg_segment_align: 8
    .kernarg_segment_size: 280
    .language:       OpenCL C
    .language_version:
      - 2
      - 0
    .max_flat_workgroup_size: 1024
    .name:           _Z6RevertPiS_i
    .private_segment_fixed_size: 0
    .sgpr_count:     11
    .sgpr_spill_count: 0
    .symbol:         _Z6RevertPiS_i.kd
    .uniform_work_group_size: 1
    .uses_dynamic_stack: false
    .vgpr_count:     5
    .vgpr_spill_count: 0
    .wavefront_size: 64
  - .agpr_count:     0
    .args:
      - .offset:         0
        .size:           4
        .value_kind:     by_value
      - .address_space:  global
        .offset:         8
        .size:           8
        .value_kind:     global_buffer
      - .address_space:  global
        .offset:         16
        .size:           8
        .value_kind:     global_buffer
      - .offset:         24
        .size:           4
        .value_kind:     hidden_block_count_x
      - .offset:         28
        .size:           4
        .value_kind:     hidden_block_count_y
      - .offset:         32
        .size:           4
        .value_kind:     hidden_block_count_z
      - .offset:         36
        .size:           2
        .value_kind:     hidden_group_size_x
      - .offset:         38
        .size:           2
        .value_kind:     hidden_group_size_y
      - .offset:         40
        .size:           2
        .value_kind:     hidden_group_size_z
      - .offset:         42
        .size:           2
        .value_kind:     hidden_remainder_x
      - .offset:         44
        .size:           2
        .value_kind:     hidden_remainder_y
      - .offset:         46
        .size:           2
        .value_kind:     hidden_remainder_z
      - .offset:         64
        .size:           8
        .value_kind:     hidden_global_offset_x
      - .offset:         72
        .size:           8
        .value_kind:     hidden_global_offset_y
      - .offset:         80
        .size:           8
        .value_kind:     hidden_global_offset_z
      - .offset:         88
        .size:           2
        .value_kind:     hidden_grid_dims
      - .offset:         104
        .size:           8
        .value_kind:     hidden_hostcall_buffer
    .group_segment_fixed_size: 0
    .kernarg_segment_align: 8
    .kernarg_segment_size: 280
    .language:       OpenCL C
    .language_version:
      - 2
      - 0
    .max_flat_workgroup_size: 1024
    .name:           _Z5printiPN2rw3CutEPi
    .private_segment_fixed_size: 0
    .sgpr_count:     36
    .sgpr_spill_count: 0
    .symbol:         _Z5printiPN2rw3CutEPi.kd
    .uniform_work_group_size: 1
    .uses_dynamic_stack: false
    .vgpr_count:     41
    .vgpr_spill_count: 0
    .wavefront_size: 64
  - .agpr_count:     0
    .args:
      - .offset:         0
        .size:           4
        .value_kind:     by_value
      - .address_space:  global
        .offset:         8
        .size:           8
        .value_kind:     global_buffer
      - .address_space:  global
        .offset:         16
        .size:           8
        .value_kind:     global_buffer
      - .address_space:  global
        .offset:         24
        .size:           8
        .value_kind:     global_buffer
      - .address_space:  global
        .offset:         32
        .size:           8
        .value_kind:     global_buffer
      - .address_space:  global
        .offset:         40
        .size:           8
        .value_kind:     global_buffer
      - .address_space:  global
        .offset:         48
        .size:           8
        .value_kind:     global_buffer
      - .address_space:  global
        .offset:         56
        .size:           8
        .value_kind:     global_buffer
      - .address_space:  global
        .offset:         64
        .size:           8
        .value_kind:     global_buffer
      - .address_space:  global
        .offset:         72
        .size:           8
        .value_kind:     global_buffer
      - .address_space:  global
        .offset:         80
        .size:           8
        .value_kind:     global_buffer
      - .address_space:  global
        .offset:         88
        .size:           8
        .value_kind:     global_buffer
      - .address_space:  global
        .offset:         96
        .size:           8
        .value_kind:     global_buffer
      - .offset:         104
        .size:           4
        .value_kind:     by_value
      - .offset:         112
        .size:           4
        .value_kind:     hidden_block_count_x
      - .offset:         116
        .size:           4
        .value_kind:     hidden_block_count_y
      - .offset:         120
        .size:           4
        .value_kind:     hidden_block_count_z
      - .offset:         124
        .size:           2
        .value_kind:     hidden_group_size_x
      - .offset:         126
        .size:           2
        .value_kind:     hidden_group_size_y
      - .offset:         128
        .size:           2
        .value_kind:     hidden_group_size_z
      - .offset:         130
        .size:           2
        .value_kind:     hidden_remainder_x
      - .offset:         132
        .size:           2
        .value_kind:     hidden_remainder_y
      - .offset:         134
        .size:           2
        .value_kind:     hidden_remainder_z
      - .offset:         152
        .size:           8
        .value_kind:     hidden_global_offset_x
      - .offset:         160
        .size:           8
        .value_kind:     hidden_global_offset_y
      - .offset:         168
        .size:           8
        .value_kind:     hidden_global_offset_z
      - .offset:         176
        .size:           2
        .value_kind:     hidden_grid_dims
      - .offset:         192
        .size:           8
        .value_kind:     hidden_hostcall_buffer
    .group_segment_fixed_size: 0
    .kernarg_segment_align: 8
    .kernarg_segment_size: 368
    .language:       OpenCL C
    .language_version:
      - 2
      - 0
    .max_flat_workgroup_size: 1024
    .name:           _Z16EvaluateNodeWaveiPiS_S_S_S_S_PN2rw3CutES2_S_PNS0_7LibraryEPNS0_9TableNodeEPKii
    .private_segment_fixed_size: 608
    .sgpr_count:     106
    .sgpr_spill_count: 58
    .symbol:         _Z16EvaluateNodeWaveiPiS_S_S_S_S_PN2rw3CutES2_S_PNS0_7LibraryEPNS0_9TableNodeEPKii.kd
    .uniform_work_group_size: 1
    .uses_dynamic_stack: true
    .vgpr_count:     80
    .vgpr_spill_count: 0
    .wavefront_size: 64
amdhsa.target:   amdgcn-amd-amdhsa--gfx950
amdhsa.version:
  - 1
  - 2
...

	.end_amdgpu_metadata
